;; amdgpu-corpus repo=zjin-lcf/HeCBench kind=compiled arch=gfx906 opt=O3
	.amdgcn_target "amdgcn-amd-amdhsa--gfx906"
	.amdhsa_code_object_version 6
	.text
	.protected	_Z17kernel_initializeP15HIP_vector_typeIsLj2EEPsPKtiPS_IfLj2EEPKf14ConstMemParams ; -- Begin function _Z17kernel_initializeP15HIP_vector_typeIsLj2EEPsPKtiPS_IfLj2EEPKf14ConstMemParams
	.globl	_Z17kernel_initializeP15HIP_vector_typeIsLj2EEPsPKtiPS_IfLj2EEPKf14ConstMemParams
	.p2align	8
	.type	_Z17kernel_initializeP15HIP_vector_typeIsLj2EEPsPKtiPS_IfLj2EEPKf14ConstMemParams,@function
_Z17kernel_initializeP15HIP_vector_typeIsLj2EEPsPKtiPS_IfLj2EEPKf14ConstMemParams: ; @_Z17kernel_initializeP15HIP_vector_typeIsLj2EEPsPKtiPS_IfLj2EEPKf14ConstMemParams
; %bb.0:
	s_mov_b64 s[90:91], s[2:3]
	s_mov_b64 s[88:89], s[0:1]
	s_load_dword s0, s[4:5], 0x7c4
	s_add_u32 s88, s88, s7
	s_addc_u32 s89, s89, 0
	s_add_u32 s58, s4, 48
	s_load_dword s1, s[4:5], 0x790
	s_load_dword s7, s[4:5], 0x764
	s_addc_u32 s59, s5, 0
	s_waitcnt lgkmcnt(0)
	s_and_b32 s0, s0, 0xffff
	s_mul_i32 s6, s6, s0
	v_add_u32_e32 v12, s6, v0
	v_and_b32_e32 v4, 0xffffffe0, v12
	v_cmp_gt_i32_e32 vcc, s1, v4
	v_cndmask_b32_e64 v1, 15, 5, vcc
	v_lshlrev_b32_e32 v2, 2, v1
	global_load_dword v2, v2, s[58:59] offset:1848
	v_cndmask_b32_e64 v0, 11, 0, vcc
	v_cndmask_b32_e64 v3, 20, 10, vcc
	v_add_u32_e32 v5, 1, v1
	v_mov_b32_e32 v8, s59
	s_cmp_lt_i32 s7, 2
	s_load_dwordx4 s[60:63], s[4:5], 0x0
	s_waitcnt vmcnt(0)
	v_cmp_gt_i32_e32 vcc, v2, v4
	v_cndmask_b32_e32 v0, v5, v0, vcc
	v_cndmask_b32_e32 v1, v3, v1, vcc
	v_add_u16_e32 v2, v0, v1
	v_lshrrev_b16_e32 v2, 1, v2
	v_lshlrev_b32_e32 v3, 2, v2
	global_load_dword v3, v3, s[58:59] offset:1848
	v_add_u32_e32 v5, 1, v2
	s_waitcnt vmcnt(0)
	v_cmp_gt_i32_e32 vcc, v3, v4
	v_cndmask_b32_e32 v3, v5, v0, vcc
	v_cndmask_b32_e32 v2, v1, v2, vcc
	v_add_u32_e32 v0, v3, v2
	v_lshrrev_b32_e32 v5, 1, v0
	v_lshlrev_b32_e32 v0, 2, v5
	global_load_dword v6, v0, s[58:59] offset:1848
	s_load_dwordx2 s[8:9], s[4:5], 0x10
	s_load_dword s6, s[4:5], 0x18
	s_load_dwordx4 s[0:3], s[4:5], 0x20
	s_waitcnt lgkmcnt(0)
	v_mov_b32_e32 v7, s9
	v_lshl_add_u32 v0, s6, 14, v12
	v_ashrrev_i32_e32 v1, 31, v0
	v_lshlrev_b64 v[0:1], 1, v[0:1]
	v_add_co_u32_e32 v0, vcc, s8, v0
	v_addc_co_u32_e32 v1, vcc, v7, v1, vcc
	global_load_ushort v7, v[0:1], off
	v_add_u32_e32 v0, 1, v5
	s_waitcnt vmcnt(1)
	v_cmp_gt_i32_e32 vcc, v6, v4
	v_cndmask_b32_e32 v6, v0, v3, vcc
	v_cndmask_b32_e32 v5, v2, v5, vcc
	v_add_co_u32_e32 v2, vcc, v6, v5
	v_addc_co_u32_e64 v3, s[8:9], 0, 0, vcc
	v_lshrrev_b64 v[0:1], 1, v[2:3]
	v_alignbit_b32 v2, v3, v2, 1
	v_lshlrev_b64 v[0:1], 2, v[0:1]
	v_add_u32_e32 v3, 1, v2
	v_add_co_u32_e32 v0, vcc, s58, v0
	v_addc_co_u32_e32 v1, vcc, v8, v1, vcc
	global_load_dword v8, v[0:1], off offset:1848
	s_waitcnt vmcnt(1)
	v_lshlrev_b32_e32 v0, 3, v7
	global_load_dwordx2 v[0:1], v0, s[0:1]
	s_waitcnt vmcnt(1)
	v_cmp_gt_i32_e32 vcc, v8, v4
	v_cndmask_b32_e32 v3, v3, v6, vcc
	v_cndmask_b32_e32 v2, v5, v2, vcc
	v_add_u32_e32 v2, v3, v2
	s_cbranch_scc1 .LBB0_9
; %bb.1:
	s_cmp_eq_u32 s7, 2
	s_waitcnt vmcnt(0)
	v_mov_b32_e32 v5, v0
	v_mov_b32_e32 v4, v1
	s_cbranch_scc0 .LBB0_10
; %bb.2:
	v_lshrrev_b32_e32 v3, 1, v2
	v_mul_lo_u16_e32 v5, 0xab, v3
	v_lshrrev_b16_e32 v5, 9, v5
	v_mul_lo_u16_e32 v5, 3, v5
	v_sub_u16_e32 v3, v3, v5
	v_mov_b32_e32 v5, 1
	v_mul_f32_e32 v4, 0.5, v1
	v_cmp_gt_i16_sdwa s[0:1], v3, v5 src0_sel:BYTE_0 src1_sel:DWORD
	s_and_saveexec_b64 s[4:5], s[0:1]
	s_xor_b64 s[0:1], exec, s[4:5]
; %bb.3:
	v_add_f32_e32 v4, 0.5, v4
                                        ; implicit-def: $vgpr3
; %bb.4:
	s_or_saveexec_b64 s[0:1], s[0:1]
	v_mul_f32_e32 v5, 0.5, v0
	s_xor_b64 exec, exec, s[0:1]
	s_cbranch_execz .LBB0_8
; %bb.5:
	v_mov_b32_e32 v6, 1
	v_cmp_eq_u16_sdwa s[8:9], v3, v6 src0_sel:BYTE_0 src1_sel:DWORD
	s_and_saveexec_b64 s[4:5], s[8:9]
; %bb.6:
	v_add_f32_e32 v5, 0.5, v5
; %bb.7:
	s_or_b64 exec, exec, s[4:5]
.LBB0_8:
	s_or_b64 exec, exec, s[0:1]
	s_cbranch_execz .LBB0_11
	s_branch .LBB0_20
.LBB0_9:
                                        ; implicit-def: $vgpr5
                                        ; implicit-def: $vgpr4
	s_branch .LBB0_11
.LBB0_10:
	s_cbranch_execnz .LBB0_20
.LBB0_11:
	s_cmp_lg_u32 s7, 1
	s_cbranch_scc1 .LBB0_19
; %bb.12:
	s_mov_b32 s0, 0x55555556
	v_mul_hi_i32 v3, v12, s0
	s_waitcnt vmcnt(0)
	v_mul_f32_e32 v1, 0.5, v1
	v_lshrrev_b32_e32 v4, 31, v3
	v_add_u32_e32 v3, v3, v4
	v_lshl_add_u32 v3, v3, 1, v3
	v_sub_u32_e32 v3, v12, v3
	v_cmp_lt_i32_e32 vcc, 1, v3
	s_and_saveexec_b64 s[0:1], vcc
	s_xor_b64 s[0:1], exec, s[0:1]
; %bb.13:
	v_add_f32_e32 v1, 0.5, v1
                                        ; implicit-def: $vgpr3
; %bb.14:
	s_or_saveexec_b64 s[0:1], s[0:1]
	v_mul_f32_e32 v0, 0.5, v0
	s_xor_b64 exec, exec, s[0:1]
	s_cbranch_execz .LBB0_18
; %bb.15:
	v_cmp_eq_u32_e32 vcc, 1, v3
	s_and_saveexec_b64 s[4:5], vcc
; %bb.16:
	v_add_f32_e32 v0, 0.5, v0
; %bb.17:
	s_or_b64 exec, exec, s[4:5]
.LBB0_18:
	s_or_b64 exec, exec, s[0:1]
.LBB0_19:
	s_waitcnt vmcnt(0)
	v_mov_b32_e32 v4, v1
	v_mov_b32_e32 v5, v0
.LBB0_20:
	v_lshrrev_b32_e32 v13, 1, v2
	v_mad_u64_u32 v[9:10], s[0:1], v13, 24, s[58:59]
	s_mov_b32 s26, 0xf800000
	v_mov_b32_e32 v8, 0
	global_load_dwordx2 v[1:2], v[9:10], off offset:896
	v_mov_b32_e32 v14, v8
	v_mov_b32_e32 v11, 0x260
	s_movk_i32 s79, 0x204
	v_mov_b32_e32 v27, 0x7fc00000
	v_not_b32_e32 v21, 63
	v_not_b32_e32 v22, 31
	s_mov_b32 s67, 0xfe5163ab
	s_mov_b32 s68, 0x3c439041
	;; [unrolled: 1-line block ×10, first 2 shown]
	s_brev_b32 s64, -2
	s_brev_b32 s33, 18
	s_movk_i32 s77, 0x1f8
	v_mov_b32_e32 v50, 0x7f800000
	s_mov_b32 s80, 0x3fb8aa3b
	s_mov_b32 s82, 0xc2ce8ed0
	;; [unrolled: 1-line block ×8, first 2 shown]
	s_waitcnt vmcnt(0)
	buffer_store_dword v1, off, s[88:91], 0 offset:64 ; 4-byte Folded Spill
	s_nop 0
	buffer_store_dword v2, off, s[88:91], 0 offset:68 ; 4-byte Folded Spill
	global_load_dwordx4 v[15:18], v[9:10], off offset:880
	s_waitcnt vmcnt(0)
	buffer_store_dword v15, off, s[88:91], 0 offset:72 ; 4-byte Folded Spill
	s_nop 0
	buffer_store_dword v16, off, s[88:91], 0 offset:76 ; 4-byte Folded Spill
	buffer_store_dword v17, off, s[88:91], 0 offset:80 ; 4-byte Folded Spill
	;; [unrolled: 1-line block ×4, first 2 shown]
	s_nop 0
	buffer_store_dword v14, off, s[88:91], 0 offset:28 ; 4-byte Folded Spill
	v_mul_f32_e32 v0, v4, v16
	v_fmac_f32_e32 v0, v5, v15
	v_add_f32_e32 v51, v17, v0
	v_mul_f32_e32 v0, v4, v1
	v_fmac_f32_e32 v0, v5, v18
	v_add_f32_e32 v19, v2, v0
	v_mul_f32_e32 v0, v19, v19
	v_fma_f32 v3, v51, v51, v0
	v_cmp_gt_f32_e32 vcc, s26, v3
	v_mul_f32_e32 v1, 0x4f800000, v3
	v_cndmask_b32_e32 v1, v3, v1, vcc
	v_sqrt_f32_e32 v2, v1
	v_cmp_class_f32_e64 s[4:5], v51, s79
	v_and_b32_e32 v34, 0x7fffffff, v51
	v_and_b32_e32 v36, 0x7fffffff, v19
	v_add_u32_e32 v4, -1, v2
	v_fma_f32 v5, -v4, v2, v1
	v_cmp_ge_f32_e64 s[0:1], 0, v5
	v_add_u32_e32 v5, 1, v2
	v_cndmask_b32_e64 v4, v2, v4, s[0:1]
	v_fma_f32 v2, -v5, v2, v1
	v_cmp_lt_f32_e64 s[0:1], 0, v2
	v_cndmask_b32_e64 v2, v4, v5, s[0:1]
	v_mul_f32_e32 v4, 0x37800000, v2
	v_cndmask_b32_e32 v2, v2, v4, vcc
	v_cmp_class_f32_e32 vcc, v1, v11
	v_cndmask_b32_e32 v20, v2, v1, vcc
	v_div_scale_f32 v1, s[0:1], v20, v20, 1.0
	v_cmp_gt_i32_e64 s[0:1], 0, v19
	v_fma_f32 v0, v51, v51, -v0
	v_mul_f32_e32 v37, 0x40490fdb, v51
	v_and_b32_e32 v53, 0x7fffffff, v37
	v_mul_f32_e32 v28, 0x40490fdb, v19
	v_mul_f32_e32 v18, 0x40400000, v51
	v_and_b32_e32 v52, 0x7fffffff, v18
	v_mul_f32_e32 v55, 0x40490fdb, v20
	v_and_b32_e32 v61, 0x7fffffff, v55
	v_add_f32_e32 v45, v51, v51
	v_cmp_lt_f32_e64 s[24:25], |v37|, s33
	v_cmp_class_f32_e64 s[34:35], v37, s77
	v_cmp_lt_f32_e64 s[44:45], |v28|, s33
	v_cmp_class_f32_e64 s[48:49], v28, s77
	v_rcp_f32_e32 v2, v1
	v_fma_f32 v4, -v1, v2, 1.0
	v_fmac_f32_e32 v2, v4, v2
	v_div_scale_f32 v4, vcc, 1.0, v20, 1.0
	v_mul_f32_e32 v5, v4, v2
	v_fma_f32 v6, -v1, v5, v4
	v_fmac_f32_e32 v5, v6, v2
	v_fma_f32 v1, -v1, v5, v4
	v_div_fmas_f32 v1, v1, v2, v5
	v_max_f32_e64 v2, |v19|, |v51|
	v_frexp_exp_i32_f32_e32 v4, v2
	v_frexp_mant_f32_e32 v2, v2
	v_rcp_f32_e32 v2, v2
	v_cmp_gt_f32_e64 vcc, |v51|, |v19|
	v_div_fixup_f32 v24, v1, v20, 1.0
	v_min_f32_e64 v1, |v19|, |v51|
	v_frexp_exp_i32_f32_e32 v5, v1
	v_frexp_mant_f32_e32 v1, v1
	v_mul_f32_e32 v1, v1, v2
	v_sub_u32_e32 v2, v5, v4
	v_ldexp_f32 v4, v1, v2
	v_mul_f32_e32 v5, v4, v4
	v_mov_b32_e32 v1, 0xbc7a590c
	v_fmac_f32_e32 v1, 0x3b2d2a58, v5
	v_mov_b32_e32 v2, 0x3d29fb3f
	v_fmac_f32_e32 v2, v5, v1
	;; [unrolled: 2-line block ×7, first 2 shown]
	v_mul_f32_e32 v1, v5, v1
	v_fmac_f32_e32 v4, v4, v1
	v_sub_f32_e32 v1, 0x3fc90fdb, v4
	v_cndmask_b32_e32 v1, v4, v1, vcc
	v_sub_f32_e32 v2, 0x40490fdb, v1
	v_cmp_gt_f32_e32 vcc, 0, v19
	v_cndmask_b32_e32 v1, v1, v2, vcc
	v_mov_b32_e32 v2, 0x40490fdb
	v_cndmask_b32_e64 v2, 0, v2, s[0:1]
	v_cmp_eq_f32_e64 s[0:1], 0, v51
	v_cndmask_b32_e64 v1, v1, v2, s[0:1]
	v_mov_b32_e32 v2, 0x3f490fdb
	v_mov_b32_e32 v4, 0x4016cbe4
	v_cmp_class_f32_e64 s[0:1], v19, s79
	v_cndmask_b32_e32 v2, v2, v4, vcc
	s_and_b64 vcc, s[4:5], s[0:1]
	v_lshlrev_b64 v[5:6], 4, v[13:14]
	v_cndmask_b32_e32 v1, v1, v2, vcc
	v_cmp_o_f32_e32 vcc, v19, v51
	v_cndmask_b32_e32 v4, v27, v1, vcc
	v_add_co_u32_e32 v35, vcc, v9, v5
	v_and_b32_e32 v1, 0x3fffff, v12
	v_addc_co_u32_e32 v56, vcc, v10, v6, vcc
	v_lshlrev_b32_e32 v1, 2, v1
	v_add_co_u32_e32 v5, vcc, s2, v1
	v_mov_b32_e32 v1, s3
	v_addc_co_u32_e32 v6, vcc, 0, v1, vcc
	buffer_store_dword v5, off, s[88:91], 0 offset:88 ; 4-byte Folded Spill
	s_nop 0
	buffer_store_dword v6, off, s[88:91], 0 offset:92 ; 4-byte Folded Spill
	s_load_dword s0, s[58:59], 0x730
	v_mov_b32_e32 v1, v12
	buffer_store_dword v1, off, s[88:91], 0 offset:16 ; 4-byte Folded Spill
	s_nop 0
	buffer_store_dword v2, off, s[88:91], 0 offset:20 ; 4-byte Folded Spill
	v_and_b32_e32 v33, 0x7fffffff, v4
	v_bfi_b32 v54, s64, v4, v51
	s_waitcnt lgkmcnt(0)
	v_lshl_add_u32 v1, s0, 7, v12
	v_and_b32_e32 v1, 0x3fffff, v1
	v_lshlrev_b32_e32 v1, 2, v1
	v_add_co_u32_e32 v5, vcc, s2, v1
	v_mov_b32_e32 v1, s3
	v_addc_co_u32_e32 v6, vcc, 0, v1, vcc
	v_lshrrev_b32_e32 v1, 23, v34
	v_add_u32_e32 v1, 0xffffff88, v1
	v_cmp_lt_u32_e32 vcc, 63, v1
	v_cndmask_b32_e32 v2, 0, v21, vcc
	v_add_u32_e32 v1, v2, v1
	v_cmp_lt_u32_e64 s[2:3], 31, v1
	v_cndmask_b32_e64 v2, 0, v22, s[2:3]
	v_add_u32_e32 v1, v2, v1
	v_cmp_lt_u32_e64 s[4:5], 31, v1
	buffer_store_dword v5, off, s[88:91], 0 offset:212 ; 4-byte Folded Spill
	s_nop 0
	buffer_store_dword v6, off, s[88:91], 0 offset:216 ; 4-byte Folded Spill
	v_cndmask_b32_e64 v2, 0, v22, s[4:5]
	v_add_u32_e32 v5, v2, v1
	v_and_b32_e32 v1, 0x7fffff, v34
	v_or_b32_e32 v6, 0x800000, v1
	v_mad_u64_u32 v[9:10], s[8:9], v6, s67, 0
	v_cmp_eq_u32_e64 s[6:7], 0, v5
	v_sub_u32_e32 v5, 32, v5
	v_mov_b32_e32 v7, v10
	v_mad_u64_u32 v[12:13], s[8:9], v6, s68, v[7:8]
	v_cmp_lt_f32_e64 s[0:1], |v51|, s33
	v_mov_b32_e32 v7, v13
	v_mad_u64_u32 v[13:14], s[8:9], v6, s69, v[7:8]
	v_mov_b32_e32 v7, v14
	v_mad_u64_u32 v[14:15], s[8:9], v6, s70, v[7:8]
	v_cndmask_b32_e32 v9, v13, v9, vcc
	v_mov_b32_e32 v7, v15
	v_mad_u64_u32 v[15:16], s[8:9], v6, s71, v[7:8]
	v_mov_b32_e32 v7, v16
	v_mad_u64_u32 v[16:17], s[8:9], v6, s72, v[7:8]
	;; [unrolled: 2-line block ×3, first 2 shown]
	v_cndmask_b32_e32 v1, v16, v14, vcc
	v_cndmask_b32_e32 v2, v6, v15, vcc
	;; [unrolled: 1-line block ×3, first 2 shown]
	v_cndmask_b32_e64 v6, v2, v1, s[2:3]
	v_cndmask_b32_e64 v2, v7, v2, s[2:3]
	v_cndmask_b32_e32 v7, v15, v13, vcc
	v_cndmask_b32_e64 v1, v1, v7, s[2:3]
	v_cndmask_b32_e64 v2, v2, v6, s[4:5]
	;; [unrolled: 1-line block ×3, first 2 shown]
	v_alignbit_b32 v10, v2, v6, v5
	v_cndmask_b32_e64 v2, v10, v2, s[6:7]
	v_cndmask_b32_e32 v10, v14, v12, vcc
	v_cndmask_b32_e64 v7, v7, v10, s[2:3]
	v_cndmask_b32_e64 v1, v1, v7, s[4:5]
	v_alignbit_b32 v12, v6, v1, v5
	v_cndmask_b32_e64 v9, v10, v9, s[2:3]
	v_cndmask_b32_e64 v6, v12, v6, s[6:7]
	v_bfe_u32 v15, v2, 29, 1
	v_cndmask_b32_e64 v7, v7, v9, s[4:5]
	v_alignbit_b32 v12, v2, v6, 30
	v_sub_u32_e32 v16, 0, v15
	v_alignbit_b32 v5, v1, v7, v5
	v_xor_b32_e32 v12, v12, v16
	v_cndmask_b32_e64 v1, v5, v1, s[6:7]
	v_alignbit_b32 v5, v6, v1, 30
	v_ffbh_u32_e32 v6, v12
	v_min_u32_e32 v6, 32, v6
	v_alignbit_b32 v1, v1, v7, 30
	v_xor_b32_e32 v5, v5, v16
	v_sub_u32_e32 v9, 31, v6
	v_xor_b32_e32 v1, v1, v16
	v_alignbit_b32 v10, v12, v5, v9
	v_alignbit_b32 v1, v5, v1, v9
	v_alignbit_b32 v5, v10, v1, 9
	v_ffbh_u32_e32 v7, v5
	v_min_u32_e32 v7, 32, v7
	v_lshrrev_b32_e32 v14, 29, v2
	v_not_b32_e32 v9, v7
	v_alignbit_b32 v1, v5, v1, v9
	v_lshlrev_b32_e32 v5, 31, v14
	v_or_b32_e32 v9, 0x33000000, v5
	v_add_lshl_u32 v7, v7, v6, 23
	v_lshrrev_b32_e32 v1, 9, v1
	v_sub_u32_e32 v7, v9, v7
	v_or_b32_e32 v5, 0.5, v5
	v_lshlrev_b32_e32 v6, 23, v6
	v_or_b32_e32 v1, v7, v1
	v_lshrrev_b32_e32 v7, 9, v10
	v_sub_u32_e32 v5, v5, v6
	v_or_b32_e32 v5, v7, v5
	v_mul_f32_e32 v6, 0x3fc90fda, v5
	v_fma_f32 v7, v5, s74, -v6
	v_fmac_f32_e32 v7, 0x33a22168, v5
	v_fmac_f32_e32 v7, 0x3fc90fda, v1
	v_lshrrev_b32_e32 v1, 30, v2
	v_add_u32_e32 v58, v15, v1
	v_mul_f32_e64 v1, |v51|, s75
	v_rndne_f32_e32 v1, v1
	v_fma_f32 v32, v1, s76, |v51|
	v_fmac_f32_e32 v32, 0xb3a22168, v1
	v_fmac_f32_e32 v32, 0xa7c234c4, v1
	v_cvt_i32_f32_e32 v1, v1
	v_add_f32_e32 v57, v6, v7
	v_cmp_class_f32_e64 s[2:3], v51, s77
	v_cmp_lt_f32_e64 s[4:5], |v19|, s33
	buffer_store_dword v1, off, s[88:91], 0 ; 4-byte Folded Spill
	v_lshrrev_b32_e32 v1, 23, v36
	v_add_u32_e32 v1, 0xffffff88, v1
	v_cmp_lt_u32_e32 vcc, 63, v1
	v_cndmask_b32_e32 v2, 0, v21, vcc
	v_add_u32_e32 v1, v2, v1
	v_cmp_lt_u32_e64 s[6:7], 31, v1
	v_cndmask_b32_e64 v2, 0, v22, s[6:7]
	v_add_u32_e32 v1, v2, v1
	v_cmp_lt_u32_e64 s[8:9], 31, v1
	v_cndmask_b32_e64 v2, 0, v22, s[8:9]
	v_add_u32_e32 v1, v2, v1
	v_and_b32_e32 v2, 0x7fffff, v36
	v_or_b32_e32 v2, 0x800000, v2
	v_mad_u64_u32 v[5:6], s[12:13], v2, s67, 0
	v_cmp_eq_u32_e64 s[10:11], 0, v1
	v_sub_u32_e32 v1, 32, v1
	v_mov_b32_e32 v7, v6
	v_mad_u64_u32 v[6:7], s[12:13], v2, s68, v[7:8]
	v_mad_u64_u32 v[9:10], s[12:13], v2, s69, v[7:8]
	v_mov_b32_e32 v7, v10
	v_mad_u64_u32 v[12:13], s[12:13], v2, s70, v[7:8]
	v_cndmask_b32_e32 v5, v9, v5, vcc
	v_mov_b32_e32 v7, v13
	v_mad_u64_u32 v[13:14], s[12:13], v2, s71, v[7:8]
	v_cndmask_b32_e32 v6, v12, v6, vcc
	v_cndmask_b32_e64 v5, v6, v5, s[6:7]
	v_mov_b32_e32 v7, v14
	v_mad_u64_u32 v[14:15], s[12:13], v2, s72, v[7:8]
	v_mov_b32_e32 v7, v15
	v_mad_u64_u32 v[15:16], s[12:13], v2, s73, v[7:8]
	v_cndmask_b32_e32 v10, v14, v12, vcc
	v_cndmask_b32_e32 v2, v15, v13, vcc
	;; [unrolled: 1-line block ×4, first 2 shown]
	v_cndmask_b32_e64 v7, v2, v10, s[6:7]
	v_cndmask_b32_e64 v2, v14, v2, s[6:7]
	;; [unrolled: 1-line block ×6, first 2 shown]
	v_alignbit_b32 v14, v2, v7, v1
	v_cndmask_b32_e64 v10, v10, v12, s[8:9]
	v_cndmask_b32_e64 v2, v14, v2, s[10:11]
	v_alignbit_b32 v13, v7, v10, v1
	v_cndmask_b32_e64 v7, v13, v7, s[10:11]
	v_bfe_u32 v15, v2, 29, 1
	v_cndmask_b32_e64 v5, v12, v5, s[8:9]
	v_alignbit_b32 v13, v2, v7, 30
	v_sub_u32_e32 v16, 0, v15
	v_alignbit_b32 v1, v10, v5, v1
	v_xor_b32_e32 v13, v13, v16
	v_cndmask_b32_e64 v1, v1, v10, s[10:11]
	v_alignbit_b32 v6, v7, v1, 30
	v_ffbh_u32_e32 v7, v13
	v_min_u32_e32 v7, 32, v7
	v_alignbit_b32 v1, v1, v5, 30
	v_xor_b32_e32 v6, v6, v16
	v_sub_u32_e32 v9, 31, v7
	v_xor_b32_e32 v1, v1, v16
	v_alignbit_b32 v10, v13, v6, v9
	v_alignbit_b32 v1, v6, v1, v9
	;; [unrolled: 1-line block ×3, first 2 shown]
	v_ffbh_u32_e32 v6, v5
	v_min_u32_e32 v6, 32, v6
	v_lshrrev_b32_e32 v14, 29, v2
	v_not_b32_e32 v9, v6
	v_alignbit_b32 v1, v5, v1, v9
	v_lshlrev_b32_e32 v5, 31, v14
	v_or_b32_e32 v9, 0x33000000, v5
	v_add_lshl_u32 v6, v6, v7, 23
	v_lshrrev_b32_e32 v1, 9, v1
	v_sub_u32_e32 v6, v9, v6
	v_or_b32_e32 v5, 0.5, v5
	v_lshlrev_b32_e32 v7, 23, v7
	v_or_b32_e32 v1, v6, v1
	v_lshrrev_b32_e32 v6, 9, v10
	v_sub_u32_e32 v5, v5, v7
	v_or_b32_e32 v5, v6, v5
	v_mul_f32_e32 v6, 0x3fc90fda, v5
	v_fma_f32 v7, v5, s74, -v6
	v_fmac_f32_e32 v7, 0x33a22168, v5
	v_fmac_f32_e32 v7, 0x3fc90fda, v1
	v_add_f32_e32 v1, v6, v7
	buffer_store_dword v1, off, s[88:91], 0 offset:36 ; 4-byte Folded Spill
	v_lshrrev_b32_e32 v1, 30, v2
	v_add_u32_e32 v2, v15, v1
	v_add_u32_e32 v1, v14, v1
	buffer_store_dword v1, off, s[88:91], 0 offset:4 ; 4-byte Folded Spill
	v_div_scale_f32 v1, s[8:9], v0, v0, 1.0
	buffer_store_dword v2, off, s[88:91], 0 offset:40 ; 4-byte Folded Spill
	v_mul_f32_e64 v2, |v19|, s75
	v_rndne_f32_e32 v2, v2
	v_fma_f32 v39, v2, s76, |v19|
	v_fmac_f32_e32 v39, 0xb3a22168, v2
	v_fmac_f32_e32 v39, 0xa7c234c4, v2
	v_cvt_i32_f32_e32 v2, v2
	v_cmp_class_f32_e64 s[6:7], v19, s77
	buffer_store_dword v2, off, s[88:91], 0 offset:44 ; 4-byte Folded Spill
	v_rcp_f32_e32 v2, v1
	v_fma_f32 v5, -v1, v2, 1.0
	v_fmac_f32_e32 v2, v5, v2
	v_div_scale_f32 v5, vcc, 1.0, v0, 1.0
	v_mul_f32_e32 v6, v5, v2
	v_fma_f32 v7, -v1, v6, v5
	v_fmac_f32_e32 v6, v7, v2
	v_fma_f32 v1, -v1, v6, v5
	v_div_fmas_f32 v1, v1, v2, v6
	v_div_fixup_f32 v0, v1, v0, 1.0
	v_mul_f32_e64 v1, v51, |v0|
	v_mul_f32_e64 v0, v19, |v0|
	buffer_store_dword v0, off, s[88:91], 0 offset:268 ; 4-byte Folded Spill
	v_fma_f32 v0, v20, v20, 4.0
	buffer_store_dword v1, off, s[88:91], 0 offset:264 ; 4-byte Folded Spill
	v_div_scale_f32 v1, s[8:9], v0, v0, 4.0
	v_rcp_f32_e32 v2, v1
	v_fma_f32 v5, -v1, v2, 1.0
	v_fmac_f32_e32 v2, v5, v2
	v_div_scale_f32 v5, vcc, 4.0, v0, 4.0
	v_mul_f32_e32 v6, v5, v2
	v_fma_f32 v7, -v1, v6, v5
	v_fmac_f32_e32 v6, v7, v2
	v_fma_f32 v1, -v1, v6, v5
	v_div_fmas_f32 v1, v1, v2, v6
	v_div_fixup_f32 v0, v1, v0, 4.0
	v_mul_f32_e32 v1, v51, v0
	v_mul_f32_e32 v0, v19, v0
	buffer_store_dword v0, off, s[88:91], 0 offset:224 ; 4-byte Folded Spill
	v_add_f32_e32 v0, 1.0, v20
	buffer_store_dword v1, off, s[88:91], 0 offset:220 ; 4-byte Folded Spill
	v_div_scale_f32 v1, s[8:9], v0, v0, 2.0
	v_cmp_lt_f32_e64 s[8:9], |v4|, s33
	v_rcp_f32_e32 v2, v1
	v_fma_f32 v5, -v1, v2, 1.0
	v_fmac_f32_e32 v2, v5, v2
	v_div_scale_f32 v5, vcc, 2.0, v0, 2.0
	v_mul_f32_e32 v6, v5, v2
	v_fma_f32 v7, -v1, v6, v5
	v_fmac_f32_e32 v6, v7, v2
	v_fma_f32 v1, -v1, v6, v5
	v_div_fmas_f32 v1, v1, v2, v6
	v_div_fixup_f32 v0, v1, v0, 2.0
	v_mul_f32_e32 v1, v51, v0
	v_mul_f32_e32 v0, v19, v0
	buffer_store_dword v0, off, s[88:91], 0 offset:12 ; 4-byte Folded Spill
	v_lshrrev_b32_e32 v0, 23, v33
	v_add_u32_e32 v0, 0xffffff88, v0
	v_cmp_lt_u32_e32 vcc, 63, v0
	buffer_store_dword v1, off, s[88:91], 0 offset:8 ; 4-byte Folded Spill
	v_cndmask_b32_e32 v1, 0, v21, vcc
	v_add_u32_e32 v0, v1, v0
	v_cmp_lt_u32_e64 s[10:11], 31, v0
	v_cndmask_b32_e64 v1, 0, v22, s[10:11]
	v_add_u32_e32 v0, v1, v0
	v_cmp_lt_u32_e64 s[12:13], 31, v0
	v_cndmask_b32_e64 v1, 0, v22, s[12:13]
	v_add_u32_e32 v0, v1, v0
	v_and_b32_e32 v1, 0x7fffff, v33
	v_or_b32_e32 v1, 0x800000, v1
	v_mad_u64_u32 v[5:6], s[16:17], v1, s67, 0
	v_cmp_eq_u32_e64 s[14:15], 0, v0
	v_sub_u32_e32 v0, 32, v0
	v_mov_b32_e32 v7, v6
	v_mad_u64_u32 v[6:7], s[16:17], v1, s68, v[7:8]
	v_mad_u64_u32 v[9:10], s[16:17], v1, s69, v[7:8]
	v_mov_b32_e32 v7, v10
	v_mad_u64_u32 v[12:13], s[16:17], v1, s70, v[7:8]
	v_cndmask_b32_e32 v5, v9, v5, vcc
	v_mov_b32_e32 v7, v13
	v_mad_u64_u32 v[13:14], s[16:17], v1, s71, v[7:8]
	v_cndmask_b32_e32 v6, v12, v6, vcc
	v_cndmask_b32_e64 v5, v6, v5, s[10:11]
	v_mov_b32_e32 v7, v14
	v_mad_u64_u32 v[14:15], s[16:17], v1, s72, v[7:8]
	v_mov_b32_e32 v7, v15
	v_mad_u64_u32 v[15:16], s[16:17], v1, s73, v[7:8]
	v_cndmask_b32_e32 v2, v14, v12, vcc
	v_cndmask_b32_e32 v1, v15, v13, vcc
	;; [unrolled: 1-line block ×3, first 2 shown]
	v_cndmask_b32_e64 v7, v1, v2, s[10:11]
	v_cndmask_b32_e64 v1, v10, v1, s[10:11]
	v_cndmask_b32_e32 v10, v13, v9, vcc
	v_cndmask_b32_e64 v2, v2, v10, s[10:11]
	v_cndmask_b32_e64 v1, v1, v7, s[12:13]
	;; [unrolled: 1-line block ×4, first 2 shown]
	v_alignbit_b32 v13, v1, v7, v0
	v_cndmask_b32_e64 v2, v2, v10, s[12:13]
	v_cndmask_b32_e64 v1, v13, v1, s[14:15]
	v_alignbit_b32 v12, v7, v2, v0
	v_cndmask_b32_e64 v7, v12, v7, s[14:15]
	v_bfe_u32 v14, v1, 29, 1
	v_alignbit_b32 v12, v1, v7, 30
	v_sub_u32_e32 v15, 0, v14
	v_cndmask_b32_e64 v5, v10, v5, s[12:13]
	v_xor_b32_e32 v12, v12, v15
	v_alignbit_b32 v0, v2, v5, v0
	v_cndmask_b32_e64 v0, v0, v2, s[14:15]
	v_ffbh_u32_e32 v6, v12
	v_alignbit_b32 v2, v7, v0, 30
	v_min_u32_e32 v6, 32, v6
	v_alignbit_b32 v0, v0, v5, 30
	v_xor_b32_e32 v2, v2, v15
	v_sub_u32_e32 v7, 31, v6
	v_xor_b32_e32 v0, v0, v15
	v_alignbit_b32 v9, v12, v2, v7
	v_alignbit_b32 v0, v2, v0, v7
	v_alignbit_b32 v2, v9, v0, 9
	v_ffbh_u32_e32 v5, v2
	v_min_u32_e32 v5, 32, v5
	v_lshrrev_b32_e32 v13, 29, v1
	v_not_b32_e32 v7, v5
	v_alignbit_b32 v0, v2, v0, v7
	v_lshlrev_b32_e32 v2, 31, v13
	v_or_b32_e32 v7, 0x33000000, v2
	v_add_lshl_u32 v5, v5, v6, 23
	v_lshrrev_b32_e32 v0, 9, v0
	v_sub_u32_e32 v5, v7, v5
	v_or_b32_e32 v2, 0.5, v2
	v_lshlrev_b32_e32 v6, 23, v6
	v_or_b32_e32 v0, v5, v0
	v_lshrrev_b32_e32 v5, 9, v9
	v_sub_u32_e32 v2, v2, v6
	v_or_b32_e32 v2, v5, v2
	v_mul_f32_e32 v5, 0x3fc90fda, v2
	v_fma_f32 v6, v2, s74, -v5
	v_fmac_f32_e32 v6, 0x33a22168, v2
	v_fmac_f32_e32 v6, 0x3fc90fda, v0
	v_add_f32_e32 v0, v5, v6
	buffer_store_dword v0, off, s[88:91], 0 offset:48 ; 4-byte Folded Spill
	v_lshrrev_b32_e32 v0, 30, v1
	v_add_u32_e32 v0, v14, v0
	buffer_store_dword v0, off, s[88:91], 0 offset:52 ; 4-byte Folded Spill
	v_mul_f32_e64 v0, |v4|, s75
	v_rndne_f32_e32 v0, v0
	v_fma_f32 v43, v0, s76, |v4|
	v_fmac_f32_e32 v43, 0xb3a22168, v0
	v_fmac_f32_e32 v43, 0xa7c234c4, v0
	v_cvt_i32_f32_e32 v0, v0
	v_cmp_class_f32_e64 s[10:11], v4, s77
	v_and_b32_e32 v4, 0x7fffff, v53
	buffer_store_dword v0, off, s[88:91], 0 offset:56 ; 4-byte Folded Spill
	v_lshrrev_b32_e32 v0, 23, v53
	v_add_u32_e32 v0, 0xffffff88, v0
	v_cmp_lt_u32_e32 vcc, 63, v0
	v_cndmask_b32_e32 v1, 0, v21, vcc
	v_add_u32_e32 v0, v1, v0
	v_cmp_lt_u32_e64 s[12:13], 31, v0
	v_cndmask_b32_e64 v1, 0, v22, s[12:13]
	v_add_u32_e32 v0, v1, v0
	v_cmp_lt_u32_e64 s[14:15], 31, v0
	v_cndmask_b32_e64 v1, 0, v22, s[14:15]
	v_add_u32_e32 v0, v1, v0
	v_or_b32_e32 v1, 0x800000, v4
	v_mad_u64_u32 v[15:16], s[18:19], v1, s67, 0
	v_cmp_eq_u32_e64 s[16:17], 0, v0
	v_mov_b32_e32 v7, v16
	v_mad_u64_u32 v[5:6], s[18:19], v1, s68, v[7:8]
	v_mov_b32_e32 v7, v6
	v_mad_u64_u32 v[16:17], s[18:19], v1, s69, v[7:8]
	;; [unrolled: 2-line block ×3, first 2 shown]
	v_mad_u64_u32 v[9:10], s[18:19], v1, s71, v[7:8]
	v_mov_b32_e32 v7, v10
	v_mad_u64_u32 v[12:13], s[18:19], v1, s72, v[7:8]
	v_mov_b32_e32 v7, v13
	v_mad_u64_u32 v[13:14], s[18:19], v1, s73, v[7:8]
	v_cndmask_b32_e32 v2, v12, v6, vcc
	v_cndmask_b32_e32 v1, v13, v9, vcc
	;; [unrolled: 1-line block ×3, first 2 shown]
	v_cndmask_b32_e64 v4, v1, v2, s[12:13]
	v_cndmask_b32_e64 v1, v7, v1, s[12:13]
	v_cndmask_b32_e32 v7, v9, v16, vcc
	v_cndmask_b32_e64 v2, v2, v7, s[12:13]
	v_cndmask_b32_e64 v1, v1, v4, s[14:15]
	;; [unrolled: 1-line block ×3, first 2 shown]
	v_sub_u32_e32 v4, 32, v0
	v_alignbit_b32 v0, v1, v9, v4
	v_cndmask_b32_e64 v0, v0, v1, s[16:17]
	v_cndmask_b32_e32 v1, v6, v5, vcc
	v_cndmask_b32_e64 v5, v7, v1, s[12:13]
	v_cndmask_b32_e64 v2, v2, v5, s[14:15]
	v_alignbit_b32 v6, v9, v2, v4
	v_cndmask_b32_e32 v13, v16, v15, vcc
	v_cndmask_b32_e64 v6, v6, v9, s[16:17]
	v_bfe_u32 v10, v0, 29, 1
	v_cndmask_b32_e64 v1, v1, v13, s[12:13]
	v_alignbit_b32 v7, v0, v6, 30
	v_sub_u32_e32 v12, 0, v10
	v_cndmask_b32_e64 v1, v5, v1, s[14:15]
	v_xor_b32_e32 v7, v7, v12
	v_alignbit_b32 v4, v2, v1, v4
	v_cndmask_b32_e64 v2, v4, v2, s[16:17]
	v_ffbh_u32_e32 v5, v7
	v_alignbit_b32 v4, v6, v2, 30
	v_min_u32_e32 v5, 32, v5
	v_alignbit_b32 v1, v2, v1, 30
	v_xor_b32_e32 v4, v4, v12
	v_sub_u32_e32 v6, 31, v5
	v_xor_b32_e32 v1, v1, v12
	v_alignbit_b32 v7, v7, v4, v6
	v_alignbit_b32 v1, v4, v1, v6
	v_alignbit_b32 v2, v7, v1, 9
	v_ffbh_u32_e32 v4, v2
	v_min_u32_e32 v4, 32, v4
	v_lshrrev_b32_e32 v9, 29, v0
	v_not_b32_e32 v6, v4
	v_lshrrev_b32_e32 v0, 30, v0
	v_alignbit_b32 v1, v2, v1, v6
	v_lshlrev_b32_e32 v2, 31, v9
	v_add_u32_e32 v0, v10, v0
	v_or_b32_e32 v6, 0x33000000, v2
	v_add_lshl_u32 v4, v4, v5, 23
	buffer_store_dword v0, off, s[88:91], 0 offset:148 ; 4-byte Folded Spill
	v_mul_f32_e64 v0, |v37|, s75
	v_lshrrev_b32_e32 v1, 9, v1
	v_sub_u32_e32 v4, v6, v4
	v_or_b32_e32 v2, 0.5, v2
	v_lshlrev_b32_e32 v5, 23, v5
	v_rndne_f32_e32 v0, v0
	v_or_b32_e32 v1, v4, v1
	v_lshrrev_b32_e32 v4, 9, v7
	v_sub_u32_e32 v2, v2, v5
	v_fma_f32 v26, v0, s76, |v37|
	v_or_b32_e32 v2, v4, v2
	v_fmac_f32_e32 v26, 0xb3a22168, v0
	v_mul_f32_e32 v4, 0x3fc90fda, v2
	v_fmac_f32_e32 v26, 0xa7c234c4, v0
	v_cvt_i32_f32_e32 v0, v0
	v_fma_f32 v5, v2, s74, -v4
	v_fmac_f32_e32 v5, 0x33a22168, v2
	v_fmac_f32_e32 v5, 0x3fc90fda, v1
	s_mov_b32 s12, 0xbf317218
	v_add_f32_e32 v1, v4, v5
	buffer_store_dword v0, off, s[88:91], 0 offset:152 ; 4-byte Folded Spill
	v_add_f32_e64 v0, |v19|, s12
	buffer_store_dword v1, off, s[88:91], 0 offset:144 ; 4-byte Folded Spill
	v_sub_f32_e64 v1, v0, |v19|
	v_sub_f32_e32 v2, v1, v0
	v_add_f32_e64 v2, |v19|, v2
	v_add_f32_e32 v1, 0x3f317218, v1
	v_sub_f32_e32 v1, v2, v1
	v_add_f32_e32 v1, 0x3102e308, v1
	v_add_f32_e32 v2, v0, v1
	v_sub_f32_e32 v0, v0, v2
	v_add_f32_e32 v0, v1, v0
	v_mul_f32_e32 v1, 0x3fb8aa3b, v2
	v_rndne_f32_e32 v1, v1
	v_fmac_f32_e32 v2, 0xbf317200, v1
	v_add_f32_e32 v4, v0, v2
	v_sub_f32_e32 v2, v2, v4
	v_add_f32_e32 v0, v0, v2
	v_mul_f32_e32 v2, 0x35bfbc00, v1
	v_sub_f32_e32 v5, v4, v2
	v_sub_f32_e32 v4, v4, v5
	;; [unrolled: 1-line block ×3, first 2 shown]
	v_add_f32_e32 v0, v0, v2
	v_add_f32_e32 v2, v5, v0
	v_sub_f32_e32 v4, v5, v2
	v_add_f32_e32 v0, v0, v4
	v_mul_f32_e32 v4, 0x2ea39ef3, v1
	v_sub_f32_e32 v5, v2, v4
	v_sub_f32_e32 v2, v2, v5
	;; [unrolled: 1-line block ×3, first 2 shown]
	v_add_f32_e32 v0, v0, v2
	v_add_f32_e32 v2, v5, v0
	v_mov_b32_e32 v4, 0x3c091de6
	v_fmac_f32_e32 v4, 0x3ab42872, v2
	v_mov_b32_e32 v6, 0x3d2aadcc
	v_fmac_f32_e32 v6, v2, v4
	v_mov_b32_e32 v4, 0x3e2aaa47
	v_fmac_f32_e32 v4, v2, v6
	v_mov_b32_e32 v6, 0x3efffffc
	v_fmac_f32_e32 v6, v2, v4
	v_sub_f32_e32 v4, v5, v2
	v_add_f32_e32 v0, v0, v4
	v_mul_f32_e32 v5, v2, v2
	v_add_f32_e32 v4, v0, v0
	v_fma_f32 v7, v2, v2, -v5
	v_fmac_f32_e32 v7, v2, v4
	v_add_f32_e32 v4, v5, v7
	v_sub_f32_e32 v5, v4, v5
	v_sub_f32_e32 v5, v7, v5
	v_mul_f32_e32 v7, v6, v4
	v_fma_f32 v4, v4, v6, -v7
	v_fmac_f32_e32 v4, v5, v6
	v_add_f32_e32 v5, v7, v4
	v_sub_f32_e32 v6, v5, v7
	v_sub_f32_e32 v4, v4, v6
	v_add_f32_e32 v6, v2, v5
	v_sub_f32_e32 v2, v6, v2
	v_sub_f32_e32 v2, v5, v2
	v_add_f32_e32 v0, v0, v4
	v_add_f32_e32 v0, v0, v2
	;; [unrolled: 1-line block ×3, first 2 shown]
	v_sub_f32_e32 v4, v2, v6
	v_sub_f32_e32 v0, v0, v4
	v_add_f32_e32 v4, 1.0, v2
	v_add_f32_e32 v5, -1.0, v4
	v_sub_f32_e32 v2, v2, v5
	v_cvt_i32_f32_e32 v1, v1
	v_add_f32_e32 v0, v0, v2
	v_add_f32_e32 v2, v4, v0
	v_sub_f32_e32 v4, v2, v4
	v_sub_f32_e32 v0, v0, v4
	v_ldexp_f32 v2, v2, v1
	v_ldexp_f32 v0, v0, v1
	v_rcp_f32_e32 v1, v2
	s_mov_b32 s12, 0x42b2d4fc
	v_cmp_gt_f32_e64 vcc, |v19|, s12
	s_mov_b32 s12, 0x39800000
	v_mul_f32_e32 v4, v2, v1
	v_fma_f32 v5, v1, v2, -v4
	v_fmac_f32_e32 v5, v1, v0
	v_add_f32_e32 v6, v4, v5
	v_sub_f32_e32 v7, 1.0, v6
	v_sub_f32_e32 v9, 1.0, v7
	v_sub_f32_e32 v4, v6, v4
	v_sub_f32_e32 v9, v9, v6
	;; [unrolled: 1-line block ×3, first 2 shown]
	v_add_f32_e32 v4, v4, v9
	v_add_f32_e32 v5, v7, v4
	v_mul_f32_e32 v6, v1, v5
	v_mul_f32_e32 v9, v2, v6
	v_fma_f32 v10, v6, v2, -v9
	v_fmac_f32_e32 v10, v6, v0
	v_sub_f32_e32 v7, v7, v5
	v_add_f32_e32 v4, v4, v7
	v_add_f32_e32 v7, v9, v10
	v_sub_f32_e32 v12, v5, v7
	v_sub_f32_e32 v5, v5, v12
	;; [unrolled: 1-line block ×4, first 2 shown]
	v_add_f32_e32 v4, v4, v5
	v_sub_f32_e32 v5, v9, v10
	v_add_f32_e32 v4, v5, v4
	v_add_f32_e32 v4, v12, v4
	;; [unrolled: 1-line block ×3, first 2 shown]
	v_mul_f32_e32 v4, v1, v4
	v_sub_f32_e32 v1, v5, v1
	v_sub_f32_e32 v1, v6, v1
	v_add_f32_e32 v1, v1, v4
	v_add_f32_e32 v4, v5, v1
	v_sub_f32_e32 v5, v4, v5
	v_ldexp_f32 v4, v4, -2
	v_sub_f32_e32 v1, v1, v5
	v_add_f32_e32 v5, v2, v4
	v_ldexp_f32 v1, v1, -2
	v_sub_f32_e32 v6, v5, v2
	v_sub_f32_e32 v6, v4, v6
	v_add_f32_e32 v7, v0, v1
	v_add_f32_e32 v6, v7, v6
	v_add_f32_e32 v5, v5, v6
	v_cndmask_b32_e32 v5, v5, v50, vcc
	buffer_store_dword v5, off, s[88:91], 0 offset:168 ; 4-byte Folded Spill
	v_sub_f32_e32 v5, v2, v4
	v_sub_f32_e32 v2, v2, v5
	;; [unrolled: 1-line block ×3, first 2 shown]
	v_add_f32_e32 v0, v0, v2
	v_sub_f32_e32 v0, v0, v1
	v_add_f32_e32 v0, v5, v0
	v_cndmask_b32_e32 v0, v0, v50, vcc
	v_cmp_lt_f32_e64 s[12:13], |v19|, s12
	v_cndmask_b32_e64 v0, v0, |v19|, s[12:13]
	v_bfi_b32 v0, s64, v0, v19
	buffer_store_dword v0, off, s[88:91], 0 offset:172 ; 4-byte Folded Spill
	v_add_f32_e32 v0, -1.0, v51
	v_mul_f32_e32 v1, 0x3fb8aa3b, v0
	v_fma_f32 v2, v0, s80, -v1
	v_rndne_f32_e32 v4, v1
	v_fmac_f32_e32 v2, 0x32a5705f, v0
	v_sub_f32_e32 v1, v1, v4
	v_add_f32_e32 v1, v1, v2
	v_exp_f32_e32 v1, v1
	v_cvt_i32_f32_e32 v2, v4
	v_cmp_ngt_f32_e32 vcc, s82, v0
	v_and_b32_e32 v9, 0x7fffffff, v28
	v_ldexp_f32 v1, v1, v2
	v_cndmask_b32_e32 v1, 0, v1, vcc
	v_cmp_nlt_f32_e32 vcc, s83, v0
	v_lshrrev_b32_e32 v0, 23, v9
	v_add_u32_e32 v0, 0xffffff88, v0
	v_cndmask_b32_e32 v44, v50, v1, vcc
	v_cmp_lt_u32_e32 vcc, 63, v0
	v_cndmask_b32_e32 v1, 0, v21, vcc
	v_add_u32_e32 v0, v1, v0
	v_cmp_lt_u32_e64 s[12:13], 31, v0
	v_cndmask_b32_e64 v1, 0, v22, s[12:13]
	v_add_u32_e32 v0, v1, v0
	v_cmp_lt_u32_e64 s[14:15], 31, v0
	v_cndmask_b32_e64 v1, 0, v22, s[14:15]
	v_add_u32_e32 v0, v1, v0
	v_and_b32_e32 v1, 0x7fffff, v9
	v_or_b32_e32 v1, 0x800000, v1
	v_mad_u64_u32 v[15:16], s[18:19], v1, s67, 0
	v_cmp_eq_u32_e64 s[16:17], 0, v0
	v_mov_b32_e32 v7, v16
	v_mad_u64_u32 v[5:6], s[18:19], v1, s68, v[7:8]
	v_mov_b32_e32 v7, v6
	v_mad_u64_u32 v[16:17], s[18:19], v1, s69, v[7:8]
	;; [unrolled: 2-line block ×3, first 2 shown]
	v_mad_u64_u32 v[12:13], s[18:19], v1, s71, v[7:8]
	v_mov_b32_e32 v7, v13
	v_mad_u64_u32 v[13:14], s[18:19], v1, s72, v[7:8]
	v_mov_b32_e32 v7, v14
	v_mad_u64_u32 v[29:30], s[18:19], v1, s73, v[7:8]
	v_cndmask_b32_e32 v2, v13, v6, vcc
	v_cndmask_b32_e32 v14, v16, v15, vcc
	;; [unrolled: 1-line block ×4, first 2 shown]
	v_cndmask_b32_e64 v4, v1, v2, s[12:13]
	v_cndmask_b32_e64 v1, v7, v1, s[12:13]
	v_cndmask_b32_e32 v7, v12, v16, vcc
	v_cndmask_b32_e64 v2, v2, v7, s[12:13]
	v_cndmask_b32_e64 v1, v1, v4, s[14:15]
	;; [unrolled: 1-line block ×3, first 2 shown]
	v_sub_u32_e32 v4, 32, v0
	v_alignbit_b32 v0, v1, v10, v4
	v_cndmask_b32_e64 v0, v0, v1, s[16:17]
	v_cndmask_b32_e32 v1, v6, v5, vcc
	v_cndmask_b32_e64 v5, v7, v1, s[12:13]
	v_cndmask_b32_e64 v2, v2, v5, s[14:15]
	v_alignbit_b32 v6, v10, v2, v4
	v_cndmask_b32_e64 v6, v6, v10, s[16:17]
	v_bfe_u32 v12, v0, 29, 1
	v_cndmask_b32_e64 v1, v1, v14, s[12:13]
	v_alignbit_b32 v7, v0, v6, 30
	v_sub_u32_e32 v13, 0, v12
	v_cndmask_b32_e64 v1, v5, v1, s[14:15]
	v_xor_b32_e32 v7, v7, v13
	v_alignbit_b32 v4, v2, v1, v4
	v_cndmask_b32_e64 v2, v4, v2, s[16:17]
	v_ffbh_u32_e32 v5, v7
	v_alignbit_b32 v4, v6, v2, 30
	v_min_u32_e32 v5, 32, v5
	v_alignbit_b32 v1, v2, v1, 30
	v_xor_b32_e32 v4, v4, v13
	v_sub_u32_e32 v6, 31, v5
	v_xor_b32_e32 v1, v1, v13
	v_alignbit_b32 v7, v7, v4, v6
	v_alignbit_b32 v1, v4, v1, v6
	;; [unrolled: 1-line block ×3, first 2 shown]
	v_lshrrev_b32_e32 v10, 29, v0
	v_ffbh_u32_e32 v4, v2
	v_lshrrev_b32_e32 v0, 30, v0
	v_min_u32_e32 v4, 32, v4
	v_add_u32_e32 v0, v12, v0
	v_not_b32_e32 v6, v4
	buffer_store_dword v0, off, s[88:91], 0 offset:200 ; 4-byte Folded Spill
	v_mul_f32_e64 v0, |v28|, s75
	v_alignbit_b32 v1, v2, v1, v6
	v_lshlrev_b32_e32 v2, 31, v10
	v_rndne_f32_e32 v0, v0
	v_or_b32_e32 v6, 0x33000000, v2
	v_add_lshl_u32 v4, v4, v5, 23
	v_fma_f32 v23, v0, s76, |v28|
	v_lshrrev_b32_e32 v1, 9, v1
	v_sub_u32_e32 v4, v6, v4
	v_or_b32_e32 v2, 0.5, v2
	v_lshlrev_b32_e32 v5, 23, v5
	v_fmac_f32_e32 v23, 0xb3a22168, v0
	v_or_b32_e32 v1, v4, v1
	v_lshrrev_b32_e32 v4, 9, v7
	v_sub_u32_e32 v2, v2, v5
	v_fmac_f32_e32 v23, 0xa7c234c4, v0
	v_cvt_i32_f32_e32 v0, v0
	v_or_b32_e32 v2, v4, v2
	v_mul_f32_e32 v4, 0x3fc90fda, v2
	v_mul_f32_e32 v6, 0x40400000, v19
	v_fma_f32 v5, v2, s74, -v4
	v_and_b32_e32 v31, 0x7fffffff, v6
	v_fmac_f32_e32 v5, 0x33a22168, v2
	buffer_store_dword v0, off, s[88:91], 0 offset:208 ; 4-byte Folded Spill
	v_lshrrev_b32_e32 v0, 23, v31
	v_fmac_f32_e32 v5, 0x3fc90fda, v1
	v_add_u32_e32 v0, 0xffffff88, v0
	v_add_f32_e32 v1, v4, v5
	v_cmp_lt_u32_e32 vcc, 63, v0
	buffer_store_dword v1, off, s[88:91], 0 offset:196 ; 4-byte Folded Spill
	v_cndmask_b32_e32 v1, 0, v21, vcc
	v_add_u32_e32 v0, v1, v0
	v_cmp_lt_u32_e64 s[12:13], 31, v0
	v_cndmask_b32_e64 v1, 0, v22, s[12:13]
	v_add_u32_e32 v0, v1, v0
	v_cmp_lt_u32_e64 s[14:15], 31, v0
	v_cndmask_b32_e64 v1, 0, v22, s[14:15]
	v_add_u32_e32 v0, v1, v0
	v_and_b32_e32 v1, 0x7fffff, v31
	v_or_b32_e32 v1, 0x800000, v1
	v_mad_u64_u32 v[15:16], s[20:21], v1, s67, 0
	v_cmp_eq_u32_e64 s[18:19], 0, v0
	v_cmp_lt_f32_e64 s[16:17], |v6|, s33
	v_mov_b32_e32 v7, v16
	v_mad_u64_u32 v[12:13], s[20:21], v1, s68, v[7:8]
	v_mov_b32_e32 v7, v13
	v_mad_u64_u32 v[16:17], s[20:21], v1, s69, v[7:8]
	;; [unrolled: 2-line block ×4, first 2 shown]
	v_cndmask_b32_e32 v14, v16, v15, vcc
	v_mov_b32_e32 v7, v5
	v_mad_u64_u32 v[40:41], s[20:21], v1, s72, v[7:8]
	v_mov_b32_e32 v7, v41
	v_mad_u64_u32 v[41:42], s[20:21], v1, s73, v[7:8]
	v_cndmask_b32_e32 v2, v40, v13, vcc
	v_cmp_class_f32_e64 s[20:21], v6, s77
	v_cndmask_b32_e32 v1, v41, v4, vcc
	v_cndmask_b32_e32 v7, v42, v40, vcc
	v_cndmask_b32_e64 v5, v1, v2, s[12:13]
	v_cndmask_b32_e64 v1, v7, v1, s[12:13]
	v_cndmask_b32_e32 v7, v4, v16, vcc
	v_cndmask_b32_e64 v2, v2, v7, s[12:13]
	v_cndmask_b32_e64 v1, v1, v5, s[14:15]
	;; [unrolled: 1-line block ×3, first 2 shown]
	v_sub_u32_e32 v4, 32, v0
	v_alignbit_b32 v0, v1, v5, v4
	v_cndmask_b32_e64 v0, v0, v1, s[18:19]
	v_cndmask_b32_e32 v1, v13, v12, vcc
	v_cndmask_b32_e64 v7, v7, v1, s[12:13]
	v_cndmask_b32_e64 v2, v2, v7, s[14:15]
	v_alignbit_b32 v10, v5, v2, v4
	v_cndmask_b32_e64 v1, v1, v14, s[12:13]
	v_cndmask_b32_e64 v5, v10, v5, s[18:19]
	;; [unrolled: 1-line block ×3, first 2 shown]
	v_alignbit_b32 v10, v0, v5, 30
	v_bfe_i32 v13, v0, 29, 1
	v_alignbit_b32 v4, v2, v1, v4
	v_xor_b32_e32 v10, v10, v13
	v_cndmask_b32_e64 v2, v4, v2, s[18:19]
	v_alignbit_b32 v4, v5, v2, 30
	v_ffbh_u32_e32 v5, v10
	v_min_u32_e32 v5, 32, v5
	v_alignbit_b32 v1, v2, v1, 30
	v_xor_b32_e32 v4, v4, v13
	v_sub_u32_e32 v7, 31, v5
	v_xor_b32_e32 v1, v1, v13
	v_alignbit_b32 v10, v10, v4, v7
	v_alignbit_b32 v1, v4, v1, v7
	;; [unrolled: 1-line block ×3, first 2 shown]
	v_lshrrev_b32_e32 v12, 29, v0
	v_ffbh_u32_e32 v4, v2
	v_lshrrev_b32_e32 v0, 30, v0
	v_min_u32_e32 v4, 32, v4
	v_add_u32_e32 v0, v12, v0
	v_not_b32_e32 v7, v4
	buffer_store_dword v0, off, s[88:91], 0 offset:124 ; 4-byte Folded Spill
	v_mul_f32_e64 v0, |v6|, s75
	v_alignbit_b32 v1, v2, v1, v7
	v_lshlrev_b32_e32 v2, 31, v12
	v_rndne_f32_e32 v0, v0
	v_or_b32_e32 v7, 0x33000000, v2
	v_add_lshl_u32 v4, v4, v5, 23
	v_fma_f32 v29, v0, s76, |v6|
	v_lshrrev_b32_e32 v1, 9, v1
	v_sub_u32_e32 v4, v7, v4
	v_or_b32_e32 v2, 0.5, v2
	v_lshlrev_b32_e32 v5, 23, v5
	v_fmac_f32_e32 v29, 0xb3a22168, v0
	v_or_b32_e32 v1, v4, v1
	v_lshrrev_b32_e32 v4, 9, v10
	v_sub_u32_e32 v2, v2, v5
	v_fmac_f32_e32 v29, 0xa7c234c4, v0
	v_cvt_i32_f32_e32 v0, v0
	v_or_b32_e32 v2, v4, v2
	v_mul_f32_e32 v4, 0x3fc90fda, v2
	v_fma_f32 v5, v2, s74, -v4
	v_fmac_f32_e32 v5, 0x33a22168, v2
	buffer_store_dword v0, off, s[88:91], 0 offset:128 ; 4-byte Folded Spill
	v_lshrrev_b32_e32 v0, 23, v52
	v_fmac_f32_e32 v5, 0x3fc90fda, v1
	v_add_u32_e32 v0, 0xffffff88, v0
	v_add_f32_e32 v1, v4, v5
	v_cmp_lt_u32_e32 vcc, 63, v0
	buffer_store_dword v1, off, s[88:91], 0 offset:120 ; 4-byte Folded Spill
	v_cndmask_b32_e32 v1, 0, v21, vcc
	v_add_u32_e32 v0, v1, v0
	v_cmp_lt_u32_e64 s[14:15], 31, v0
	v_cndmask_b32_e64 v1, 0, v22, s[14:15]
	v_add_u32_e32 v0, v1, v0
	v_cmp_lt_u32_e64 s[18:19], 31, v0
	v_cndmask_b32_e64 v1, 0, v22, s[18:19]
	v_add_u32_e32 v0, v1, v0
	v_and_b32_e32 v1, 0x7fffff, v52
	v_or_b32_e32 v1, 0x800000, v1
	v_mad_u64_u32 v[15:16], s[28:29], v1, s67, 0
	v_cmp_eq_u32_e64 s[22:23], 0, v0
	v_cmp_lt_f32_e64 s[12:13], |v18|, s33
	v_mov_b32_e32 v7, v16
	v_mad_u64_u32 v[12:13], s[28:29], v1, s68, v[7:8]
	v_mov_b32_e32 v7, v13
	v_mad_u64_u32 v[16:17], s[28:29], v1, s69, v[7:8]
	;; [unrolled: 2-line block ×4, first 2 shown]
	v_cndmask_b32_e32 v14, v16, v15, vcc
	v_mov_b32_e32 v7, v5
	v_mad_u64_u32 v[40:41], s[28:29], v1, s72, v[7:8]
	v_mov_b32_e32 v7, v41
	v_mad_u64_u32 v[41:42], s[28:29], v1, s73, v[7:8]
	v_cndmask_b32_e32 v2, v40, v13, vcc
	v_cndmask_b32_e32 v1, v41, v4, vcc
	;; [unrolled: 1-line block ×3, first 2 shown]
	v_cndmask_b32_e64 v5, v1, v2, s[14:15]
	v_cndmask_b32_e64 v1, v7, v1, s[14:15]
	v_cndmask_b32_e32 v7, v4, v16, vcc
	v_cndmask_b32_e64 v2, v2, v7, s[14:15]
	v_cndmask_b32_e64 v1, v1, v5, s[18:19]
	;; [unrolled: 1-line block ×3, first 2 shown]
	v_sub_u32_e32 v4, 32, v0
	v_alignbit_b32 v0, v1, v5, v4
	v_cndmask_b32_e64 v0, v0, v1, s[22:23]
	v_cndmask_b32_e32 v1, v13, v12, vcc
	v_cndmask_b32_e64 v7, v7, v1, s[14:15]
	v_cndmask_b32_e64 v2, v2, v7, s[18:19]
	v_alignbit_b32 v10, v5, v2, v4
	v_cndmask_b32_e64 v1, v1, v14, s[14:15]
	v_cndmask_b32_e64 v5, v10, v5, s[22:23]
	;; [unrolled: 1-line block ×3, first 2 shown]
	v_alignbit_b32 v10, v0, v5, 30
	v_bfe_i32 v13, v0, 29, 1
	v_alignbit_b32 v4, v2, v1, v4
	v_xor_b32_e32 v10, v10, v13
	v_cndmask_b32_e64 v2, v4, v2, s[22:23]
	v_alignbit_b32 v4, v5, v2, 30
	v_ffbh_u32_e32 v5, v10
	v_min_u32_e32 v5, 32, v5
	v_alignbit_b32 v1, v2, v1, 30
	v_xor_b32_e32 v4, v4, v13
	v_sub_u32_e32 v7, 31, v5
	v_xor_b32_e32 v1, v1, v13
	v_alignbit_b32 v10, v10, v4, v7
	v_alignbit_b32 v1, v4, v1, v7
	;; [unrolled: 1-line block ×3, first 2 shown]
	v_ffbh_u32_e32 v4, v2
	v_min_u32_e32 v4, 32, v4
	v_lshrrev_b32_e32 v12, 29, v0
	v_not_b32_e32 v7, v4
	v_lshrrev_b32_e32 v0, 30, v0
	v_alignbit_b32 v1, v2, v1, v7
	v_lshlrev_b32_e32 v2, 31, v12
	v_add_u32_e32 v0, v12, v0
	v_or_b32_e32 v7, 0x33000000, v2
	v_add_lshl_u32 v4, v4, v5, 23
	buffer_store_dword v0, off, s[88:91], 0 offset:100 ; 4-byte Folded Spill
	v_mul_f32_e64 v0, |v18|, s75
	v_lshrrev_b32_e32 v1, 9, v1
	v_sub_u32_e32 v4, v7, v4
	v_or_b32_e32 v2, 0.5, v2
	v_lshlrev_b32_e32 v5, 23, v5
	v_rndne_f32_e32 v0, v0
	v_or_b32_e32 v1, v4, v1
	v_lshrrev_b32_e32 v4, 9, v10
	v_sub_u32_e32 v2, v2, v5
	v_fma_f32 v62, v0, s76, |v18|
	v_or_b32_e32 v2, v4, v2
	v_fmac_f32_e32 v62, 0xb3a22168, v0
	v_mul_f32_e32 v4, 0x3fc90fda, v2
	v_fmac_f32_e32 v62, 0xa7c234c4, v0
	v_cvt_i32_f32_e32 v0, v0
	v_fma_f32 v5, v2, s74, -v4
	v_fmac_f32_e32 v5, 0x33a22168, v2
	v_fmac_f32_e32 v5, 0x3fc90fda, v1
	v_cmp_le_f32_e32 vcc, 0, v51
	v_add_f32_e32 v1, v4, v5
	buffer_store_dword v0, off, s[88:91], 0 offset:104 ; 4-byte Folded Spill
	v_cndmask_b32_e64 v0, 0, 2, vcc
	v_cmp_le_f32_e32 vcc, 0, v19
	buffer_store_dword v1, off, s[88:91], 0 offset:60 ; 4-byte Folded Spill
	v_cndmask_b32_e64 v1, 0, 1, vcc
	v_or_b32_e32 v0, v0, v1
	buffer_store_dword v0, off, s[88:91], 0 offset:32 ; 4-byte Folded Spill
	v_cmp_gt_f32_e32 vcc, s26, v20
	v_mul_f32_e32 v0, 0x4f800000, v20
	v_cndmask_b32_e32 v0, v20, v0, vcc
	v_sqrt_f32_e32 v1, v0
	v_cmp_class_f32_e64 s[14:15], v18, s77
	v_add_f32_e32 v18, v20, v54
	v_and_b32_e32 v63, 0x7fffffff, v18
	v_add_u32_e32 v2, -1, v1
	v_fma_f32 v4, -v2, v1, v0
	v_cmp_ge_f32_e64 s[18:19], 0, v4
	v_add_u32_e32 v4, 1, v1
	v_cndmask_b32_e64 v2, v1, v2, s[18:19]
	v_fma_f32 v1, -v4, v1, v0
	v_cmp_lt_f32_e64 s[18:19], 0, v1
	v_cndmask_b32_e64 v1, v2, v4, s[18:19]
	v_mul_f32_e32 v2, 0x37800000, v1
	v_cndmask_b32_e32 v1, v1, v2, vcc
	v_cmp_class_f32_e32 vcc, v0, v11
	v_cndmask_b32_e32 v0, v1, v0, vcc
	buffer_store_dword v0, off, s[88:91], 0 offset:228 ; 4-byte Folded Spill
	v_mul_f32_e32 v0, 0.5, v54
	buffer_store_dword v0, off, s[88:91], 0 offset:232 ; 4-byte Folded Spill
	v_lshrrev_b32_e32 v0, 23, v63
	v_add_u32_e32 v0, 0xffffff88, v0
	v_cmp_lt_u32_e32 vcc, 63, v0
	v_cndmask_b32_e32 v1, 0, v21, vcc
	v_add_u32_e32 v0, v1, v0
	v_cmp_lt_u32_e64 s[22:23], 31, v0
	v_cndmask_b32_e64 v1, 0, v22, s[22:23]
	v_add_u32_e32 v0, v1, v0
	v_cmp_lt_u32_e64 s[26:27], 31, v0
	v_cndmask_b32_e64 v1, 0, v22, s[26:27]
	v_add_u32_e32 v0, v1, v0
	v_and_b32_e32 v1, 0x7fffff, v63
	v_or_b32_e32 v1, 0x800000, v1
	v_mad_u64_u32 v[15:16], s[30:31], v1, s67, 0
	v_cmp_eq_u32_e64 s[28:29], 0, v0
	v_cmp_lt_f32_e64 s[18:19], |v18|, s33
	v_mov_b32_e32 v7, v16
	v_mad_u64_u32 v[10:11], s[30:31], v1, s68, v[7:8]
	v_mov_b32_e32 v7, v11
	v_mad_u64_u32 v[16:17], s[30:31], v1, s69, v[7:8]
	;; [unrolled: 2-line block ×6, first 2 shown]
	v_cndmask_b32_e32 v2, v12, v11, vcc
	v_cndmask_b32_e32 v1, v13, v4, vcc
	;; [unrolled: 1-line block ×3, first 2 shown]
	v_cndmask_b32_e64 v5, v1, v2, s[22:23]
	v_cndmask_b32_e64 v1, v7, v1, s[22:23]
	v_cndmask_b32_e32 v7, v4, v16, vcc
	v_cndmask_b32_e64 v2, v2, v7, s[22:23]
	v_cndmask_b32_e64 v1, v1, v5, s[26:27]
	;; [unrolled: 1-line block ×3, first 2 shown]
	v_sub_u32_e32 v4, 32, v0
	v_alignbit_b32 v0, v1, v5, v4
	v_cndmask_b32_e64 v0, v0, v1, s[28:29]
	v_cndmask_b32_e32 v1, v11, v10, vcc
	v_cndmask_b32_e64 v7, v7, v1, s[22:23]
	v_cndmask_b32_e64 v2, v2, v7, s[26:27]
	v_cndmask_b32_e32 v14, v16, v15, vcc
	v_alignbit_b32 v10, v5, v2, v4
	v_cndmask_b32_e64 v1, v1, v14, s[22:23]
	v_cndmask_b32_e64 v5, v10, v5, s[28:29]
	v_bfe_u32 v12, v0, 29, 1
	v_cndmask_b32_e64 v1, v7, v1, s[26:27]
	v_alignbit_b32 v10, v0, v5, 30
	v_sub_u32_e32 v13, 0, v12
	v_alignbit_b32 v4, v2, v1, v4
	v_xor_b32_e32 v10, v10, v13
	v_cndmask_b32_e64 v2, v4, v2, s[28:29]
	v_alignbit_b32 v4, v5, v2, 30
	v_ffbh_u32_e32 v5, v10
	v_min_u32_e32 v5, 32, v5
	v_alignbit_b32 v1, v2, v1, 30
	v_xor_b32_e32 v4, v4, v13
	v_sub_u32_e32 v7, 31, v5
	v_xor_b32_e32 v1, v1, v13
	v_alignbit_b32 v10, v10, v4, v7
	v_alignbit_b32 v1, v4, v1, v7
	v_alignbit_b32 v2, v10, v1, 9
	v_ffbh_u32_e32 v4, v2
	v_min_u32_e32 v4, 32, v4
	v_lshrrev_b32_e32 v11, 29, v0
	v_not_b32_e32 v7, v4
	v_lshrrev_b32_e32 v0, 30, v0
	v_alignbit_b32 v1, v2, v1, v7
	v_lshlrev_b32_e32 v2, 31, v11
	v_add_u32_e32 v0, v12, v0
	v_or_b32_e32 v7, 0x33000000, v2
	v_add_lshl_u32 v4, v4, v5, 23
	buffer_store_dword v0, off, s[88:91], 0 offset:112 ; 4-byte Folded Spill
	v_mul_f32_e64 v0, |v18|, s75
	v_lshrrev_b32_e32 v1, 9, v1
	v_sub_u32_e32 v4, v7, v4
	v_rndne_f32_e32 v0, v0
	v_or_b32_e32 v1, v4, v1
	v_lshrrev_b32_e32 v4, 9, v10
	v_fma_f32 v10, v0, s76, |v18|
	v_or_b32_e32 v2, 0.5, v2
	v_lshlrev_b32_e32 v5, 23, v5
	v_fmac_f32_e32 v10, 0xb3a22168, v0
	v_sub_u32_e32 v2, v2, v5
	v_fmac_f32_e32 v10, 0xa7c234c4, v0
	v_cvt_i32_f32_e32 v0, v0
	v_or_b32_e32 v2, v4, v2
	v_mul_f32_e32 v4, 0x3fc90fda, v2
	v_sub_f32_e32 v11, v54, v20
	v_fma_f32 v5, v2, s74, -v4
	v_and_b32_e32 v12, 0x7fffffff, v11
	v_fmac_f32_e32 v5, 0x33a22168, v2
	buffer_store_dword v0, off, s[88:91], 0 offset:116 ; 4-byte Folded Spill
	v_lshrrev_b32_e32 v0, 23, v12
	v_fmac_f32_e32 v5, 0x3fc90fda, v1
	v_add_u32_e32 v0, 0xffffff88, v0
	v_add_f32_e32 v1, v4, v5
	v_cmp_lt_u32_e32 vcc, 63, v0
	buffer_store_dword v1, off, s[88:91], 0 offset:108 ; 4-byte Folded Spill
	v_cndmask_b32_e32 v1, 0, v21, vcc
	v_add_u32_e32 v0, v1, v0
	v_cmp_lt_u32_e64 s[28:29], 31, v0
	v_cndmask_b32_e64 v1, 0, v22, s[28:29]
	v_add_u32_e32 v0, v1, v0
	v_cmp_lt_u32_e64 s[30:31], 31, v0
	v_cndmask_b32_e64 v1, 0, v22, s[30:31]
	v_add_u32_e32 v0, v1, v0
	v_and_b32_e32 v1, 0x7fffff, v12
	v_or_b32_e32 v1, 0x800000, v1
	v_mad_u64_u32 v[15:16], s[38:39], v1, s67, 0
	v_cmp_eq_u32_e64 s[36:37], 0, v0
	v_cmp_class_f32_e64 s[22:23], v18, s77
	v_mov_b32_e32 v7, v16
	v_mad_u64_u32 v[13:14], s[38:39], v1, s68, v[7:8]
	v_cmp_lt_f32_e64 s[26:27], |v11|, s33
	v_mov_b32_e32 v7, v14
	v_mad_u64_u32 v[16:17], s[38:39], v1, s69, v[7:8]
	v_mov_b32_e32 v7, v17
	v_mad_u64_u32 v[40:41], s[38:39], v1, s70, v[7:8]
	v_cndmask_b32_e32 v15, v16, v15, vcc
	v_mov_b32_e32 v7, v41
	v_mad_u64_u32 v[4:5], s[38:39], v1, s71, v[7:8]
	v_mov_b32_e32 v7, v5
	v_mad_u64_u32 v[41:42], s[38:39], v1, s72, v[7:8]
	;; [unrolled: 2-line block ×3, first 2 shown]
	v_cndmask_b32_e32 v2, v41, v40, vcc
	v_cndmask_b32_e32 v1, v48, v4, vcc
	;; [unrolled: 1-line block ×3, first 2 shown]
	v_cndmask_b32_e64 v5, v1, v2, s[28:29]
	v_cndmask_b32_e64 v1, v7, v1, s[28:29]
	v_cndmask_b32_e32 v7, v4, v16, vcc
	v_cndmask_b32_e64 v2, v2, v7, s[28:29]
	v_cndmask_b32_e64 v1, v1, v5, s[30:31]
	v_cndmask_b32_e64 v5, v5, v2, s[30:31]
	v_sub_u32_e32 v4, 32, v0
	v_alignbit_b32 v0, v1, v5, v4
	v_cndmask_b32_e64 v0, v0, v1, s[36:37]
	v_cndmask_b32_e32 v1, v40, v13, vcc
	v_cndmask_b32_e64 v7, v7, v1, s[28:29]
	v_cndmask_b32_e64 v2, v2, v7, s[30:31]
	v_alignbit_b32 v13, v5, v2, v4
	v_cndmask_b32_e64 v1, v1, v15, s[28:29]
	v_cndmask_b32_e64 v5, v13, v5, s[36:37]
	v_bfe_u32 v17, v0, 29, 1
	v_cndmask_b32_e64 v1, v7, v1, s[30:31]
	v_alignbit_b32 v13, v0, v5, 30
	v_sub_u32_e32 v18, 0, v17
	v_alignbit_b32 v4, v2, v1, v4
	v_xor_b32_e32 v13, v13, v18
	v_cndmask_b32_e64 v2, v4, v2, s[36:37]
	v_alignbit_b32 v4, v5, v2, 30
	v_ffbh_u32_e32 v5, v13
	v_min_u32_e32 v5, 32, v5
	v_alignbit_b32 v1, v2, v1, 30
	v_xor_b32_e32 v4, v4, v18
	v_sub_u32_e32 v7, 31, v5
	v_xor_b32_e32 v1, v1, v18
	v_alignbit_b32 v13, v13, v4, v7
	v_alignbit_b32 v1, v4, v1, v7
	;; [unrolled: 1-line block ×3, first 2 shown]
	v_ffbh_u32_e32 v4, v2
	v_min_u32_e32 v4, 32, v4
	v_lshrrev_b32_e32 v14, 29, v0
	v_not_b32_e32 v7, v4
	v_alignbit_b32 v1, v2, v1, v7
	v_lshlrev_b32_e32 v2, 31, v14
	v_or_b32_e32 v7, 0x33000000, v2
	v_add_lshl_u32 v4, v4, v5, 23
	v_lshrrev_b32_e32 v0, 30, v0
	v_lshrrev_b32_e32 v1, 9, v1
	v_sub_u32_e32 v4, v7, v4
	v_or_b32_e32 v2, 0.5, v2
	v_lshlrev_b32_e32 v5, 23, v5
	v_add_u32_e32 v0, v17, v0
	v_or_b32_e32 v1, v4, v1
	v_lshrrev_b32_e32 v4, 9, v13
	v_sub_u32_e32 v2, v2, v5
	buffer_store_dword v0, off, s[88:91], 0 offset:136 ; 4-byte Folded Spill
	v_mul_f32_e64 v0, |v11|, s75
	v_or_b32_e32 v2, v4, v2
	v_rndne_f32_e32 v0, v0
	v_mul_f32_e32 v4, 0x3fc90fda, v2
	v_fma_f32 v13, v0, s76, |v11|
	v_fma_f32 v5, v2, s74, -v4
	v_fmac_f32_e32 v13, 0xb3a22168, v0
	v_fmac_f32_e32 v5, 0x33a22168, v2
	;; [unrolled: 1-line block ×3, first 2 shown]
	v_cvt_i32_f32_e32 v0, v0
	v_fmac_f32_e32 v5, 0x3fc90fda, v1
	v_add_f32_e32 v1, v4, v5
	buffer_store_dword v1, off, s[88:91], 0 offset:132 ; 4-byte Folded Spill
	v_and_b32_e32 v1, 0x7fffffff, v20
	buffer_store_dword v0, off, s[88:91], 0 offset:140 ; 4-byte Folded Spill
	v_lshrrev_b32_e32 v0, 23, v1
	v_add_u32_e32 v0, 0xffffff88, v0
	v_cmp_lt_u32_e32 vcc, 63, v0
	v_mov_b32_e32 v2, v1
	v_cndmask_b32_e32 v1, 0, v21, vcc
	v_add_u32_e32 v0, v1, v0
	v_cmp_lt_u32_e64 s[36:37], 31, v0
	v_cndmask_b32_e64 v1, 0, v22, s[36:37]
	v_add_u32_e32 v0, v1, v0
	v_cmp_lt_u32_e64 s[38:39], 31, v0
	v_cndmask_b32_e64 v1, 0, v22, s[38:39]
	v_add_u32_e32 v0, v1, v0
	v_and_b32_e32 v1, 0x7fffff, v2
	v_or_b32_e32 v1, 0x800000, v1
	v_mad_u64_u32 v[15:16], s[46:47], v1, s67, 0
	v_cmp_eq_u32_e64 s[40:41], 0, v0
	v_cmp_class_f32_e64 s[28:29], v11, s77
	v_mov_b32_e32 v7, v16
	v_mad_u64_u32 v[40:41], s[46:47], v1, s68, v[7:8]
	v_cmp_lt_f32_e64 s[30:31], |v20|, s33
	v_mov_b32_e32 v7, v41
	v_mad_u64_u32 v[16:17], s[46:47], v1, s69, v[7:8]
	v_mov_b32_e32 v7, v17
	v_mad_u64_u32 v[41:42], s[46:47], v1, s70, v[7:8]
	v_cndmask_b32_e32 v15, v16, v15, vcc
	v_mov_b32_e32 v7, v42
	v_mad_u64_u32 v[4:5], s[46:47], v1, s71, v[7:8]
	v_mov_b32_e32 v7, v5
	v_mad_u64_u32 v[48:49], s[46:47], v1, s72, v[7:8]
	;; [unrolled: 2-line block ×3, first 2 shown]
	v_cndmask_b32_e32 v2, v48, v41, vcc
	v_cndmask_b32_e32 v1, v59, v4, vcc
	v_cndmask_b32_e32 v7, v60, v48, vcc
	v_cndmask_b32_e64 v5, v1, v2, s[36:37]
	v_cndmask_b32_e64 v1, v7, v1, s[36:37]
	v_cndmask_b32_e32 v7, v4, v16, vcc
	v_cndmask_b32_e64 v2, v2, v7, s[36:37]
	v_cndmask_b32_e64 v1, v1, v5, s[38:39]
	;; [unrolled: 1-line block ×3, first 2 shown]
	v_sub_u32_e32 v4, 32, v0
	v_alignbit_b32 v0, v1, v5, v4
	v_cndmask_b32_e64 v0, v0, v1, s[40:41]
	v_cndmask_b32_e32 v1, v41, v40, vcc
	v_cndmask_b32_e64 v7, v7, v1, s[36:37]
	v_cndmask_b32_e64 v2, v2, v7, s[38:39]
	v_alignbit_b32 v14, v5, v2, v4
	v_cndmask_b32_e64 v5, v14, v5, s[40:41]
	v_alignbit_b32 v14, v0, v5, 30
	v_lshrrev_b32_e32 v17, 29, v0
	v_bfe_u32 v18, v0, 29, 1
	v_lshrrev_b32_e32 v0, 30, v0
	v_add_u32_e32 v0, v18, v0
	buffer_store_dword v0, off, s[88:91], 0 offset:160 ; 4-byte Folded Spill
	v_mul_f32_e64 v0, |v20|, s75
	v_rndne_f32_e32 v0, v0
	v_cndmask_b32_e64 v1, v1, v15, s[36:37]
	v_fma_f32 v49, v0, s76, |v20|
	v_cndmask_b32_e64 v1, v7, v1, s[38:39]
	v_fmac_f32_e32 v49, 0xb3a22168, v0
	v_sub_u32_e32 v25, 0, v18
	v_alignbit_b32 v4, v2, v1, v4
	v_fmac_f32_e32 v49, 0xa7c234c4, v0
	v_cvt_i32_f32_e32 v0, v0
	v_xor_b32_e32 v14, v14, v25
	v_cndmask_b32_e64 v2, v4, v2, s[40:41]
	v_alignbit_b32 v4, v5, v2, 30
	v_ffbh_u32_e32 v5, v14
	v_min_u32_e32 v5, 32, v5
	v_alignbit_b32 v1, v2, v1, 30
	v_xor_b32_e32 v4, v4, v25
	v_sub_u32_e32 v7, 31, v5
	v_xor_b32_e32 v1, v1, v25
	buffer_store_dword v0, off, s[88:91], 0 offset:164 ; 4-byte Folded Spill
	v_div_scale_f32 v0, s[38:39], s42, s42, v54
	v_alignbit_b32 v14, v14, v4, v7
	v_alignbit_b32 v1, v4, v1, v7
	;; [unrolled: 1-line block ×3, first 2 shown]
	v_ffbh_u32_e32 v4, v2
	v_min_u32_e32 v4, 32, v4
	v_not_b32_e32 v7, v4
	v_alignbit_b32 v1, v2, v1, v7
	v_lshlrev_b32_e32 v2, 31, v17
	v_or_b32_e32 v7, 0x33000000, v2
	v_add_lshl_u32 v4, v4, v5, 23
	v_lshrrev_b32_e32 v1, 9, v1
	v_sub_u32_e32 v4, v7, v4
	v_or_b32_e32 v2, 0.5, v2
	v_lshlrev_b32_e32 v5, 23, v5
	v_or_b32_e32 v1, v4, v1
	v_lshrrev_b32_e32 v4, 9, v14
	v_sub_u32_e32 v2, v2, v5
	v_or_b32_e32 v2, v4, v2
	v_mul_f32_e32 v4, 0x3fc90fda, v2
	v_fma_f32 v5, v2, s74, -v4
	v_fmac_f32_e32 v5, 0x33a22168, v2
	v_fmac_f32_e32 v5, 0x3fc90fda, v1
	v_add_f32_e32 v1, v4, v5
	buffer_store_dword v1, off, s[88:91], 0 offset:156 ; 4-byte Folded Spill
	v_rcp_f32_e32 v1, v0
	v_cmp_class_f32_e64 s[36:37], v20, s77
	v_cmp_lt_f32_e64 s[38:39], |v55|, s33
	v_fma_f32 v2, -v0, v1, 1.0
	v_fmac_f32_e32 v1, v2, v1
	v_div_scale_f32 v2, vcc, v54, s42, v54
	v_mul_f32_e32 v4, v2, v1
	v_fma_f32 v5, -v0, v4, v2
	v_fmac_f32_e32 v4, v5, v1
	v_fma_f32 v0, -v0, v4, v2
	v_div_fmas_f32 v0, v0, v1, v4
	v_div_fixup_f32 v30, v0, s42, v54
	v_lshrrev_b32_e32 v0, 23, v61
	v_add_u32_e32 v0, 0xffffff88, v0
	v_cmp_lt_u32_e32 vcc, 63, v0
	v_cndmask_b32_e32 v1, 0, v21, vcc
	v_add_u32_e32 v0, v1, v0
	v_cmp_lt_u32_e64 s[40:41], 31, v0
	v_cndmask_b32_e64 v1, 0, v22, s[40:41]
	v_add_u32_e32 v0, v1, v0
	v_cmp_lt_u32_e64 s[42:43], 31, v0
	v_cndmask_b32_e64 v1, 0, v22, s[42:43]
	v_add_u32_e32 v2, v1, v0
	v_and_b32_e32 v0, 0x7fffff, v61
	v_or_b32_e32 v0, 0x800000, v0
	v_mad_u64_u32 v[15:16], s[50:51], v0, s67, 0
	v_cmp_eq_u32_e64 s[46:47], 0, v2
	v_mov_b32_e32 v7, v16
	v_mad_u64_u32 v[40:41], s[50:51], v0, s68, v[7:8]
	v_mov_b32_e32 v7, v41
	v_mad_u64_u32 v[16:17], s[50:51], v0, s69, v[7:8]
	;; [unrolled: 2-line block ×3, first 2 shown]
	v_cndmask_b32_e32 v15, v16, v15, vcc
	v_mov_b32_e32 v7, v42
	v_mad_u64_u32 v[4:5], s[50:51], v0, s71, v[7:8]
	v_mov_b32_e32 v7, v5
	v_mad_u64_u32 v[59:60], s[50:51], v0, s72, v[7:8]
	;; [unrolled: 2-line block ×3, first 2 shown]
	v_cndmask_b32_e32 v5, v59, v41, vcc
	v_cndmask_b32_e32 v0, v0, v4, vcc
	;; [unrolled: 1-line block ×3, first 2 shown]
	v_cndmask_b32_e64 v7, v0, v5, s[40:41]
	v_cndmask_b32_e64 v0, v1, v0, s[40:41]
	v_cndmask_b32_e32 v1, v4, v16, vcc
	v_cndmask_b32_e64 v5, v5, v1, s[40:41]
	v_cndmask_b32_e64 v0, v0, v7, s[42:43]
	;; [unrolled: 1-line block ×3, first 2 shown]
	v_sub_u32_e32 v4, 32, v2
	v_alignbit_b32 v2, v0, v7, v4
	v_cndmask_b32_e64 v0, v2, v0, s[46:47]
	v_cndmask_b32_e32 v2, v41, v40, vcc
	v_cndmask_b32_e64 v1, v1, v2, s[40:41]
	v_cndmask_b32_e64 v5, v5, v1, s[42:43]
	v_alignbit_b32 v14, v7, v5, v4
	v_cndmask_b32_e64 v7, v14, v7, s[46:47]
	v_bfe_u32 v18, v0, 29, 1
	v_cndmask_b32_e64 v2, v2, v15, s[40:41]
	v_alignbit_b32 v14, v0, v7, 30
	v_sub_u32_e32 v25, 0, v18
	v_cndmask_b32_e64 v1, v1, v2, s[42:43]
	v_xor_b32_e32 v14, v14, v25
	v_alignbit_b32 v2, v5, v1, v4
	v_cndmask_b32_e64 v2, v2, v5, s[46:47]
	v_ffbh_u32_e32 v5, v14
	v_alignbit_b32 v4, v7, v2, 30
	v_min_u32_e32 v5, 32, v5
	v_alignbit_b32 v1, v2, v1, 30
	v_xor_b32_e32 v4, v4, v25
	v_sub_u32_e32 v7, 31, v5
	v_xor_b32_e32 v1, v1, v25
	v_alignbit_b32 v14, v14, v4, v7
	v_alignbit_b32 v1, v4, v1, v7
	;; [unrolled: 1-line block ×3, first 2 shown]
	v_lshrrev_b32_e32 v17, 29, v0
	v_ffbh_u32_e32 v4, v2
	v_lshrrev_b32_e32 v0, 30, v0
	v_min_u32_e32 v4, 32, v4
	v_add_u32_e32 v0, v18, v0
	v_not_b32_e32 v7, v4
	buffer_store_dword v0, off, s[88:91], 0 offset:180 ; 4-byte Folded Spill
	v_mul_f32_e64 v0, |v55|, s75
	v_alignbit_b32 v1, v2, v1, v7
	v_lshlrev_b32_e32 v2, 31, v17
	v_rndne_f32_e32 v0, v0
	v_or_b32_e32 v7, 0x33000000, v2
	v_add_lshl_u32 v4, v4, v5, 23
	v_fma_f32 v48, v0, s76, |v55|
	v_lshrrev_b32_e32 v1, 9, v1
	v_sub_u32_e32 v4, v7, v4
	v_or_b32_e32 v2, 0.5, v2
	v_lshlrev_b32_e32 v5, 23, v5
	v_fmac_f32_e32 v48, 0xb3a22168, v0
	v_or_b32_e32 v1, v4, v1
	v_lshrrev_b32_e32 v4, 9, v14
	v_sub_u32_e32 v2, v2, v5
	v_fmac_f32_e32 v48, 0xa7c234c4, v0
	v_cvt_i32_f32_e32 v0, v0
	v_or_b32_e32 v2, v4, v2
	v_mul_f32_e32 v4, 0x3fc90fda, v2
	v_mul_f32_e32 v40, v20, v54
	v_fma_f32 v5, v2, s74, -v4
	v_and_b32_e32 v38, 0x7fffffff, v40
	v_fmac_f32_e32 v5, 0x33a22168, v2
	buffer_store_dword v0, off, s[88:91], 0 offset:184 ; 4-byte Folded Spill
	v_lshrrev_b32_e32 v0, 23, v38
	v_fmac_f32_e32 v5, 0x3fc90fda, v1
	v_add_u32_e32 v0, 0xffffff88, v0
	v_add_f32_e32 v1, v4, v5
	v_cmp_lt_u32_e32 vcc, 63, v0
	buffer_store_dword v1, off, s[88:91], 0 offset:176 ; 4-byte Folded Spill
	v_cndmask_b32_e32 v1, 0, v21, vcc
	v_add_u32_e32 v0, v1, v0
	v_cmp_lt_u32_e64 s[46:47], 31, v0
	v_cndmask_b32_e64 v1, 0, v22, s[46:47]
	v_add_u32_e32 v0, v1, v0
	v_cmp_lt_u32_e64 s[50:51], 31, v0
	v_cndmask_b32_e64 v1, 0, v22, s[50:51]
	v_add_u32_e32 v14, v1, v0
	v_and_b32_e32 v0, 0x7fffff, v38
	v_or_b32_e32 v2, 0x800000, v0
	v_mad_u64_u32 v[15:16], s[54:55], v2, s67, 0
	v_cmp_eq_u32_e64 s[52:53], 0, v14
	v_cmp_class_f32_e64 s[40:41], v55, s77
	v_mov_b32_e32 v7, v16
	v_mad_u64_u32 v[41:42], s[54:55], v2, s68, v[7:8]
	v_cmp_lt_f32_e64 s[42:43], |v40|, s33
	v_mov_b32_e32 v7, v42
	v_mad_u64_u32 v[16:17], s[54:55], v2, s69, v[7:8]
	v_mov_b32_e32 v7, v17
	v_mad_u64_u32 v[59:60], s[54:55], v2, s70, v[7:8]
	v_cndmask_b32_e32 v15, v16, v15, vcc
	v_mov_b32_e32 v7, v60
	v_mad_u64_u32 v[0:1], s[54:55], v2, s71, v[7:8]
	v_mov_b32_e32 v7, v1
	v_mad_u64_u32 v[4:5], s[54:55], v2, s72, v[7:8]
	;; [unrolled: 2-line block ×3, first 2 shown]
	v_cndmask_b32_e32 v17, v4, v59, vcc
	v_cndmask_b32_e32 v1, v1, v0, vcc
	;; [unrolled: 1-line block ×3, first 2 shown]
	v_cndmask_b32_e64 v5, v1, v17, s[46:47]
	v_cndmask_b32_e64 v1, v2, v1, s[46:47]
	v_cndmask_b32_e32 v2, v0, v16, vcc
	v_cndmask_b32_e64 v7, v17, v2, s[46:47]
	v_cndmask_b32_e64 v1, v1, v5, s[50:51]
	;; [unrolled: 1-line block ×3, first 2 shown]
	v_sub_u32_e32 v4, 32, v14
	v_alignbit_b32 v0, v1, v5, v4
	v_cndmask_b32_e64 v0, v0, v1, s[52:53]
	v_cndmask_b32_e32 v1, v59, v41, vcc
	v_cndmask_b32_e64 v2, v2, v1, s[46:47]
	v_cndmask_b32_e64 v7, v7, v2, s[50:51]
	v_alignbit_b32 v14, v5, v7, v4
	v_cndmask_b32_e64 v1, v1, v15, s[46:47]
	v_cndmask_b32_e64 v5, v14, v5, s[52:53]
	v_bfe_u32 v18, v0, 29, 1
	v_cndmask_b32_e64 v1, v2, v1, s[50:51]
	v_alignbit_b32 v14, v0, v5, 30
	v_sub_u32_e32 v25, 0, v18
	v_alignbit_b32 v2, v7, v1, v4
	v_xor_b32_e32 v14, v14, v25
	v_cndmask_b32_e64 v2, v2, v7, s[52:53]
	v_alignbit_b32 v4, v5, v2, 30
	v_ffbh_u32_e32 v5, v14
	v_min_u32_e32 v5, 32, v5
	v_alignbit_b32 v1, v2, v1, 30
	v_xor_b32_e32 v4, v4, v25
	v_sub_u32_e32 v7, 31, v5
	v_xor_b32_e32 v1, v1, v25
	v_alignbit_b32 v14, v14, v4, v7
	v_alignbit_b32 v1, v4, v1, v7
	;; [unrolled: 1-line block ×3, first 2 shown]
	v_ffbh_u32_e32 v4, v2
	v_min_u32_e32 v4, 32, v4
	v_lshrrev_b32_e32 v17, 29, v0
	v_not_b32_e32 v7, v4
	v_alignbit_b32 v1, v2, v1, v7
	v_lshlrev_b32_e32 v2, 31, v17
	v_or_b32_e32 v7, 0x33000000, v2
	v_add_lshl_u32 v4, v4, v5, 23
	v_lshrrev_b32_e32 v1, 9, v1
	v_sub_u32_e32 v4, v7, v4
	v_or_b32_e32 v2, 0.5, v2
	v_lshlrev_b32_e32 v5, 23, v5
	v_or_b32_e32 v1, v4, v1
	v_lshrrev_b32_e32 v4, 9, v14
	v_sub_u32_e32 v2, v2, v5
	v_or_b32_e32 v2, v4, v2
	v_mul_f32_e32 v4, 0x3fc90fda, v2
	v_fma_f32 v5, v2, s74, -v4
	v_fmac_f32_e32 v5, 0x33a22168, v2
	v_fmac_f32_e32 v5, 0x3fc90fda, v1
	v_add_f32_e32 v1, v4, v5
	v_sub_f32_e32 v2, v51, v19
	v_add_f32_e32 v4, v51, v19
	v_mul_f32_e32 v2, v2, v4
	v_mul_f32_e32 v2, v2, v24
	buffer_store_dword v2, off, s[88:91], 0 offset:236 ; 4-byte Folded Spill
	v_mul_f32_e32 v2, v45, v19
	v_mul_f32_e32 v2, v2, v24
	buffer_store_dword v2, off, s[88:91], 0 offset:240 ; 4-byte Folded Spill
	v_and_b32_e32 v2, 0x7fffffff, v3
	v_lshrrev_b32_e32 v4, 23, v2
	v_add_u32_e32 v4, 0xffffff88, v4
	v_cmp_lt_u32_e32 vcc, 63, v4
	v_cndmask_b32_e32 v5, 0, v21, vcc
	v_add_u32_e32 v4, v5, v4
	v_cmp_lt_u32_e64 s[52:53], 31, v4
	v_cndmask_b32_e64 v5, 0, v22, s[52:53]
	v_add_u32_e32 v4, v5, v4
	v_cmp_lt_u32_e64 s[54:55], 31, v4
	v_cndmask_b32_e64 v5, 0, v22, s[54:55]
	v_add_u32_e32 v14, v5, v4
	v_and_b32_e32 v4, 0x7fffff, v2
	v_or_b32_e32 v41, 0x800000, v4
	v_mad_u64_u32 v[15:16], s[84:85], v41, s67, 0
	v_lshrrev_b32_e32 v0, 30, v0
	v_add_u32_e32 v0, v18, v0
	v_mov_b32_e32 v7, v16
	v_mad_u64_u32 v[59:60], s[84:85], v41, s68, v[7:8]
	v_cmp_eq_u32_e64 s[56:57], 0, v14
	buffer_store_dword v0, off, s[88:91], 0 offset:192 ; 4-byte Folded Spill
	v_mov_b32_e32 v7, v60
	v_mad_u64_u32 v[16:17], s[84:85], v41, s69, v[7:8]
	v_mul_f32_e64 v0, |v40|, s75
	buffer_store_dword v1, off, s[88:91], 0 offset:188 ; 4-byte Folded Spill
	v_mov_b32_e32 v7, v17
	v_mad_u64_u32 v[24:25], s[84:85], v41, s70, v[7:8]
	v_cndmask_b32_e32 v15, v16, v15, vcc
	v_rndne_f32_e32 v1, v0
	v_mov_b32_e32 v7, v25
	v_mad_u64_u32 v[4:5], s[84:85], v41, s71, v[7:8]
	v_fma_f32 v0, v1, s76, |v40|
	v_fmac_f32_e32 v0, 0xb3a22168, v1
	v_mov_b32_e32 v7, v5
	v_mad_u64_u32 v[17:18], s[84:85], v41, s72, v[7:8]
	v_fmac_f32_e32 v0, 0xa7c234c4, v1
	v_cvt_i32_f32_e32 v1, v1
	v_mov_b32_e32 v7, v18
	v_mad_u64_u32 v[46:47], s[84:85], v41, s73, v[7:8]
	v_cndmask_b32_e32 v5, v17, v24, vcc
	buffer_store_dword v1, off, s[88:91], 0 offset:204 ; 4-byte Folded Spill
	v_cndmask_b32_e32 v7, v46, v4, vcc
	v_cndmask_b32_e32 v17, v47, v17, vcc
	v_cndmask_b32_e64 v18, v7, v5, s[52:53]
	v_cndmask_b32_e64 v7, v17, v7, s[52:53]
	v_cndmask_b32_e32 v17, v4, v16, vcc
	v_cndmask_b32_e64 v25, v5, v17, s[52:53]
	v_cndmask_b32_e64 v7, v7, v18, s[54:55]
	;; [unrolled: 1-line block ×3, first 2 shown]
	v_sub_u32_e32 v5, 32, v14
	v_alignbit_b32 v4, v7, v18, v5
	v_cndmask_b32_e64 v4, v4, v7, s[56:57]
	v_cndmask_b32_e32 v7, v24, v59, vcc
	v_cndmask_b32_e64 v14, v17, v7, s[52:53]
	v_cndmask_b32_e64 v17, v25, v14, s[54:55]
	v_alignbit_b32 v24, v18, v17, v5
	v_cndmask_b32_e64 v18, v24, v18, s[56:57]
	v_bfe_u32 v41, v4, 29, 1
	v_cndmask_b32_e64 v7, v7, v15, s[52:53]
	v_alignbit_b32 v24, v4, v18, 30
	v_sub_u32_e32 v42, 0, v41
	v_cndmask_b32_e64 v7, v14, v7, s[54:55]
	v_xor_b32_e32 v24, v24, v42
	v_alignbit_b32 v5, v17, v7, v5
	v_cndmask_b32_e64 v5, v5, v17, s[56:57]
	v_ffbh_u32_e32 v15, v24
	v_alignbit_b32 v14, v18, v5, 30
	v_min_u32_e32 v15, 32, v15
	v_alignbit_b32 v5, v5, v7, 30
	v_xor_b32_e32 v14, v14, v42
	v_sub_u32_e32 v16, 31, v15
	v_xor_b32_e32 v5, v5, v42
	v_alignbit_b32 v17, v24, v14, v16
	v_alignbit_b32 v5, v14, v5, v16
	;; [unrolled: 1-line block ×3, first 2 shown]
	v_ffbh_u32_e32 v14, v7
	v_min_u32_e32 v14, 32, v14
	v_lshrrev_b32_e32 v25, 29, v4
	v_not_b32_e32 v16, v14
	v_alignbit_b32 v5, v7, v5, v16
	v_lshlrev_b32_e32 v7, 31, v25
	v_or_b32_e32 v16, 0x33000000, v7
	v_add_lshl_u32 v14, v14, v15, 23
	v_lshrrev_b32_e32 v5, 9, v5
	v_sub_u32_e32 v14, v16, v14
	v_or_b32_e32 v7, 0.5, v7
	v_lshlrev_b32_e32 v15, 23, v15
	v_or_b32_e32 v5, v14, v5
	v_lshrrev_b32_e32 v14, 9, v17
	v_sub_u32_e32 v7, v7, v15
	v_or_b32_e32 v7, v14, v7
	v_mul_f32_e32 v14, 0x3fc90fda, v7
	v_fma_f32 v15, v7, s74, -v14
	v_fmac_f32_e32 v15, 0x33a22168, v7
	v_div_scale_f32 v7, s[54:55], v3, v3, v51
	v_fmac_f32_e32 v15, 0x3fc90fda, v5
	v_add_f32_e32 v14, v14, v15
	buffer_load_dword v1, off, s[88:91], 0  ; 4-byte Folded Reload
	v_lshrrev_b32_e32 v4, 30, v4
	v_add_u32_e32 v5, v41, v4
	v_mov_b32_e32 v25, 0x3c0881c4
	v_cmp_class_f32_e64 s[46:47], v40, s77
	v_mul_f32_e64 v4, |v3|, s75
	v_rndne_f32_e32 v4, v4
	v_fma_f32 v42, v4, s76, |v3|
	v_fmac_f32_e32 v42, 0xb3a22168, v4
	v_fmac_f32_e32 v42, 0xa7c234c4, v4
	v_cvt_i32_f32_e32 v4, v4
	v_cmp_lt_f32_e64 s[50:51], |v3|, s33
	v_rcp_f32_e32 v15, v7
	v_cmp_class_f32_e64 s[52:53], v3, s77
	v_fma_f32 v16, -v7, v15, 1.0
	v_fmac_f32_e32 v15, v16, v15
	v_div_scale_f32 v16, vcc, v51, v3, v51
	v_mul_f32_e32 v17, v16, v15
	v_fma_f32 v18, -v7, v17, v16
	v_fmac_f32_e32 v17, v18, v15
	v_fma_f32 v7, -v7, v17, v16
	v_div_fmas_f32 v7, v7, v15, v17
	v_div_fixup_f32 v7, v7, v3, v51
	buffer_store_dword v7, off, s[88:91], 0 offset:244 ; 4-byte Folded Spill
	v_div_scale_f32 v7, s[54:55], v3, v3, v19
	v_rcp_f32_e32 v15, v7
	v_fma_f32 v16, -v7, v15, 1.0
	v_fmac_f32_e32 v15, v16, v15
	v_div_scale_f32 v16, vcc, v19, v3, v19
	v_mul_f32_e32 v17, v16, v15
	v_fma_f32 v18, -v7, v17, v16
	v_fmac_f32_e32 v17, v18, v15
	v_fma_f32 v7, -v7, v17, v16
	v_div_fmas_f32 v7, v7, v15, v17
	v_mov_b32_e32 v17, 0x3c0881c4
	s_waitcnt vmcnt(1)
	v_cndmask_b32_e64 v15, v58, v1, s[0:1]
	v_mov_b32_e32 v1, 0xbe2aaa9d
	v_mov_b32_e32 v58, 0x3d2aabf7
	v_div_fixup_f32 v7, v7, v3, v19
	buffer_store_dword v7, off, s[88:91], 0 offset:248 ; 4-byte Folded Spill
	v_cndmask_b32_e64 v7, v57, v32, s[0:1]
	v_mul_f32_e32 v16, v7, v7
	v_fmac_f32_e32 v17, 0xb94c1982, v16
	v_fma_f32 v17, v16, v17, v1
	v_mul_f32_e32 v17, v16, v17
	v_fmac_f32_e32 v7, v7, v17
	v_mov_b32_e32 v17, 0xbab64f3b
	v_fmac_f32_e32 v17, 0x37d75334, v16
	v_fma_f32 v17, v16, v17, v58
	v_mov_b32_e32 v57, 0xbf000004
	v_fma_f32 v17, v16, v17, v57
	v_fma_f32 v16, v16, v17, 1.0
	v_and_b32_e32 v17, 1, v15
	v_lshlrev_b32_e32 v15, 30, v15
	v_and_b32_e32 v15, 0x80000000, v15
	v_cmp_eq_u32_e64 s[0:1], 0, v17
	v_or_b32_e32 v18, v15, v34
	v_cndmask_b32_e64 v17, v16, v7, s[0:1]
	v_xor_b32_e32 v18, v18, v51
	v_xor_b32_e32 v17, v18, v17
	v_cndmask_b32_e64 v34, v27, v17, s[2:3]
	buffer_load_dword v17, off, s[88:91], 0 offset:36 ; 4-byte Folded Reload
	buffer_load_dword v41, off, s[88:91], 0 offset:44 ; 4-byte Folded Reload
	;; [unrolled: 1-line block ×3, first 2 shown]
	v_mov_b32_e32 v32, 0xbab64f3b
	buffer_store_dword v34, off, s[88:91], 0 offset:96 ; 4-byte Folded Spill
	v_cndmask_b32_e64 v7, -v7, v16, s[0:1]
	v_xor_b32_e32 v7, v15, v7
	v_cndmask_b32_e64 v7, v27, v7, s[2:3]
	buffer_store_dword v7, off, s[88:91], 0 offset:260 ; 4-byte Folded Spill
	s_waitcnt vmcnt(4)
	v_cndmask_b32_e64 v17, v17, v39, s[4:5]
	v_mul_f32_e32 v24, v17, v17
	v_fmac_f32_e32 v25, 0xb94c1982, v24
	v_fmac_f32_e32 v32, 0x37d75334, v24
	s_waitcnt vmcnt(2)
	v_cndmask_b32_e64 v18, v18, v41, s[4:5]
	v_fma_f32 v25, v24, v25, v1
	v_fma_f32 v32, v24, v32, v58
	v_mul_f32_e32 v25, v24, v25
	v_fma_f32 v32, v24, v32, v57
	v_and_b32_e32 v39, 1, v18
	v_fma_f32 v25, v17, v25, v17
	v_fma_f32 v32, v24, v32, 1.0
	v_cmp_eq_u32_e64 s[54:55], 0, v39
	v_lshlrev_b32_e32 v18, 30, v18
	v_cndmask_b32_e64 v39, -v25, v32, s[54:55]
	v_and_b32_e32 v18, 0x80000000, v18
	v_xor_b32_e32 v39, v18, v39
	v_cndmask_b32_e64 v39, v27, v39, s[6:7]
	v_div_scale_f32 v46, s[56:57], v39, v39, v34
	v_cndmask_b32_e64 v7, v32, v25, s[54:55]
	v_or_b32_e32 v15, v18, v36
	v_xor_b32_e32 v7, v15, v7
	v_xor_b32_e32 v7, v7, v19
	v_cndmask_b32_e64 v7, v27, v7, s[6:7]
	buffer_store_dword v7, off, s[88:91], 0 ; 4-byte Folded Spill
	buffer_load_dword v7, off, s[88:91], 0 offset:48 ; 4-byte Folded Reload
	v_rcp_f32_e32 v47, v46
	v_fma_f32 v59, -v46, v47, 1.0
	v_fmac_f32_e32 v47, v59, v47
	v_div_scale_f32 v59, vcc, v34, v39, v34
	v_mul_f32_e32 v60, v59, v47
	v_fma_f32 v45, -v46, v60, v59
	v_fmac_f32_e32 v60, v45, v47
	v_fma_f32 v45, -v46, v60, v59
	v_div_fmas_f32 v45, v45, v47, v60
	v_mov_b32_e32 v47, 0xbf039337
	v_fmac_f32_e32 v47, 0x3c971480, v24
	v_mov_b32_e32 v59, 0x3f93f425
	v_fma_f32 v47, v24, v47, v59
	v_rcp_f32_e32 v47, v47
	v_mov_b32_e32 v46, 0x3ec54587
	v_fmac_f32_e32 v46, 0xbc8cedd3, v24
	v_mov_b32_e32 v60, 0xbf039337
	v_mul_f32_e32 v46, v46, v47
	v_mul_f32_e32 v24, v24, v46
	v_fma_f32 v46, v24, v17, v17
	v_sub_f32_e32 v47, v46, v17
	v_fma_f32 v17, v24, v17, -v47
	v_rcp_f32_e32 v24, v46
	v_div_fixup_f32 v39, v45, v39, v34
	buffer_load_dword v34, off, s[88:91], 0 offset:4 ; 4-byte Folded Reload
	v_fma_f32 v47, v46, -v24, 1.0
	buffer_store_dword v39, off, s[88:91], 0 offset:252 ; 4-byte Folded Spill
	v_fma_f32 v17, v17, -v24, v47
	v_fma_f32 v17, v17, -v24, -v24
	v_mov_b32_e32 v24, 0x3c0881c4
	v_mov_b32_e32 v45, 0x3ec54587
	s_waitcnt vmcnt(2)
	v_cndmask_b32_e64 v7, v7, v43, s[8:9]
	s_waitcnt vmcnt(1)
	v_cndmask_b32_e64 v39, v34, v41, s[4:5]
	v_and_b32_e32 v39, 1, v39
	v_cmp_eq_u32_e32 vcc, 0, v39
	v_cndmask_b32_e32 v17, v17, v46, vcc
	v_xor_b32_e32 v17, v19, v17
	v_xor_b32_e32 v17, v17, v36
	v_cndmask_b32_e64 v17, v27, v17, s[6:7]
	buffer_store_dword v17, off, s[88:91], 0 offset:256 ; 4-byte Folded Spill
	buffer_load_dword v15, off, s[88:91], 0 offset:52 ; 4-byte Folded Reload
	buffer_load_dword v16, off, s[88:91], 0 offset:56 ; 4-byte Folded Reload
	v_mov_b32_e32 v17, 0x3c0881c4
	s_mov_b32 s6, 0x3f2aaaab
	v_mov_b32_e32 v39, 0x3e91f4c4
	s_waitcnt vmcnt(0)
	v_cndmask_b32_e64 v15, v15, v16, s[8:9]
	v_mul_f32_e32 v16, v7, v7
	v_fmac_f32_e32 v17, 0xb94c1982, v16
	v_fma_f32 v17, v16, v17, v1
	v_mul_f32_e32 v17, v16, v17
	v_fmac_f32_e32 v7, v7, v17
	v_mov_b32_e32 v17, 0xbab64f3b
	v_fmac_f32_e32 v17, 0x37d75334, v16
	v_fma_f32 v17, v16, v17, v58
	v_fma_f32 v17, v16, v17, v57
	v_fma_f32 v16, v16, v17, 1.0
	v_and_b32_e32 v17, 1, v15
	v_cmp_eq_u32_e32 vcc, 0, v17
	v_cndmask_b32_e64 v17, -v7, v16, vcc
	v_cndmask_b32_e32 v7, v16, v7, vcc
	v_lshlrev_b32_e32 v15, 30, v15
	v_xor_b32_e32 v16, v7, v54
	v_and_b32_e32 v15, 0x80000000, v15
	v_xor_b32_e32 v16, v16, v33
	v_xor_b32_e32 v16, v16, v15
	;; [unrolled: 1-line block ×3, first 2 shown]
	v_cndmask_b32_e64 v34, v27, v16, s[10:11]
	buffer_load_dword v16, off, s[88:91], 0 offset:144 ; 4-byte Folded Reload
	v_cndmask_b32_e64 v36, v27, v17, s[10:11]
	buffer_load_dword v17, off, s[88:91], 0 offset:148 ; 4-byte Folded Reload
	buffer_load_dword v18, off, s[88:91], 0 offset:152 ; 4-byte Folded Reload
	buffer_load_dword v25, off, s[88:91], 0 offset:168 ; 4-byte Folded Reload
	v_or_b32_e32 v15, v15, v33
	v_xor_b32_e32 v15, v15, v54
	v_xor_b32_e32 v7, v15, v7
	v_cndmask_b32_e64 v7, v27, v7, s[10:11]
	s_waitcnt vmcnt(3)
	v_cndmask_b32_e64 v16, v16, v26, s[24:25]
	s_waitcnt vmcnt(1)
	v_cndmask_b32_e64 v17, v17, v18, s[24:25]
	v_mul_f32_e32 v18, v16, v16
	v_fmac_f32_e32 v24, 0xb94c1982, v18
	v_fma_f32 v24, v18, v24, v1
	v_mul_f32_e32 v24, v18, v24
	v_fmac_f32_e32 v16, v16, v24
	v_mov_b32_e32 v24, 0xbab64f3b
	v_fmac_f32_e32 v24, 0x37d75334, v18
	v_fma_f32 v24, v18, v24, v58
	v_fma_f32 v24, v18, v24, v57
	v_fma_f32 v18, v18, v24, 1.0
	v_and_b32_e32 v24, 1, v17
	v_cmp_eq_u32_e32 vcc, 0, v24
	v_cndmask_b32_e64 v24, -v16, v18, vcc
	v_cndmask_b32_e32 v16, v18, v16, vcc
	v_lshlrev_b32_e32 v17, 30, v17
	v_xor_b32_e32 v16, v37, v16
	v_and_b32_e32 v17, 0x80000000, v17
	v_xor_b32_e32 v16, v16, v53
	v_xor_b32_e32 v24, v17, v24
	;; [unrolled: 1-line block ×3, first 2 shown]
	v_mov_b32_e32 v17, 0xffc00000
	v_cndmask_b32_e64 v16, v17, -v16, s[34:35]
	buffer_load_dword v17, off, s[88:91], 0 offset:172 ; 4-byte Folded Reload
	v_cmp_neq_f32_e32 vcc, 1.0, v20
	v_cndmask_b32_e32 v15, 1.0, v7, vcc
	v_cmp_neq_f32_e32 vcc, 0, v15
	v_cndmask_b32_e64 v24, v27, v24, s[34:35]
	s_waitcnt vmcnt(1)
	v_mul_f32_e32 v24, v24, v25
	buffer_store_dword v24, off, s[88:91], 0 offset:144 ; 4-byte Folded Spill
	v_cmp_neq_f32_e64 s[2:3], v15, |v15|
	s_waitcnt vmcnt(1)
	v_mul_f32_e32 v16, v16, v17
	buffer_store_dword v16, off, s[88:91], 0 offset:148 ; 4-byte Folded Spill
	v_cndmask_b32_e32 v16, 1.0, v20, vcc
	v_frexp_mant_f32_e64 v17, |v16|
	v_cmp_gt_f32_e32 vcc, s6, v17
	v_cndmask_b32_e64 v18, 1.0, 2.0, vcc
	v_mul_f32_e32 v17, v17, v18
	v_add_f32_e32 v24, 1.0, v17
	v_add_f32_e32 v25, -1.0, v24
	v_add_f32_e32 v18, -1.0, v17
	v_sub_f32_e32 v17, v17, v25
	v_rcp_f32_e32 v25, v24
	v_cmp_lt_f32_e64 s[4:5], |v16|, 1.0
	s_xor_b64 s[2:3], s[2:3], s[4:5]
	v_cmp_gt_f32_e64 s[4:5], 0, v15
	v_mul_f32_e32 v26, v18, v25
	v_mul_f32_e32 v32, v24, v26
	v_fma_f32 v24, v26, v24, -v32
	v_fmac_f32_e32 v24, v26, v17
	v_add_f32_e32 v17, v32, v24
	v_sub_f32_e32 v33, v18, v17
	v_sub_f32_e32 v32, v17, v32
	;; [unrolled: 1-line block ×5, first 2 shown]
	v_add_f32_e32 v17, v18, v17
	v_add_f32_e32 v17, v33, v17
	v_mul_f32_e32 v17, v25, v17
	v_add_f32_e32 v18, v26, v17
	v_sub_f32_e32 v24, v18, v26
	v_sub_f32_e32 v17, v17, v24
	v_mul_f32_e32 v24, v18, v18
	v_fma_f32 v25, v18, v18, -v24
	v_add_f32_e32 v26, v17, v17
	v_fmac_f32_e32 v25, v18, v26
	v_add_f32_e32 v26, v24, v25
	v_sub_f32_e32 v24, v26, v24
	v_sub_f32_e32 v24, v25, v24
	v_mul_f32_e32 v25, v18, v26
	v_fma_f32 v43, v26, v18, -v25
	v_fmac_f32_e32 v43, v26, v17
	v_mov_b32_e32 v33, 0x3e91f4c4
	v_fmac_f32_e32 v43, v24, v18
	v_fmac_f32_e32 v33, 0x3e76c4e1, v26
	v_mov_b32_e32 v32, 0x3ecccdef
	v_add_f32_e32 v46, v25, v43
	v_fma_f32 v33, v26, v33, v32
	v_sub_f32_e32 v25, v46, v25
	v_sub_f32_e32 v25, v43, v25
	v_mul_f32_e32 v43, v26, v33
	v_fma_f32 v26, v26, v33, -v43
	v_fmac_f32_e32 v26, v24, v33
	v_add_f32_e32 v24, v43, v26
	v_add_f32_e32 v33, 0x3f2aaaaa, v24
	v_sub_f32_e32 v43, v24, v43
	v_sub_f32_e32 v26, v26, v43
	v_add_f32_e32 v43, 0xbf2aaaaa, v33
	v_add_f32_e32 v26, 0x31739010, v26
	v_sub_f32_e32 v24, v24, v43
	v_add_f32_e32 v24, v26, v24
	v_add_f32_e32 v26, v33, v24
	v_sub_f32_e32 v33, v33, v26
	v_add_f32_e32 v24, v24, v33
	v_mul_f32_e32 v33, v46, v26
	v_fma_f32 v43, v46, v26, -v33
	v_fmac_f32_e32 v43, v46, v24
	v_cvt_f64_f32_e64 v[46:47], |v16|
	v_fmac_f32_e32 v43, v25, v26
	v_ldexp_f32 v18, v18, 1
	v_ldexp_f32 v17, v17, 1
	v_frexp_exp_i32_f64_e32 v24, v[46:47]
	v_subbrev_co_u32_e32 v24, vcc, 0, v24, vcc
	v_cvt_f32_i32_e32 v24, v24
	v_mul_f32_e32 v25, 0x3f317218, v24
	v_fma_f32 v26, v24, s81, -v25
	v_fmac_f32_e32 v26, 0xb102e308, v24
	v_add_f32_e32 v24, v25, v26
	v_sub_f32_e32 v25, v24, v25
	v_sub_f32_e32 v25, v26, v25
	v_add_f32_e32 v26, v33, v43
	v_sub_f32_e32 v33, v26, v33
	v_sub_f32_e32 v33, v43, v33
	;; [unrolled: 3-line block ×3, first 2 shown]
	v_add_f32_e32 v17, v17, v33
	v_add_f32_e32 v17, v17, v18
	;; [unrolled: 1-line block ×3, first 2 shown]
	v_sub_f32_e32 v26, v18, v43
	v_sub_f32_e32 v17, v17, v26
	v_add_f32_e32 v26, v24, v18
	v_sub_f32_e32 v33, v26, v24
	v_sub_f32_e32 v43, v26, v33
	;; [unrolled: 1-line block ×4, first 2 shown]
	v_add_f32_e32 v18, v18, v24
	v_add_f32_e32 v24, v25, v17
	v_sub_f32_e32 v33, v24, v25
	v_sub_f32_e32 v43, v24, v33
	v_add_f32_e32 v18, v24, v18
	v_sub_f32_e32 v25, v25, v43
	v_sub_f32_e32 v17, v17, v33
	v_add_f32_e32 v24, v26, v18
	v_add_f32_e32 v17, v17, v25
	v_sub_f32_e32 v25, v24, v26
	v_sub_f32_e32 v18, v18, v25
	v_add_f32_e32 v17, v17, v18
	v_add_f32_e32 v18, v24, v17
	v_sub_f32_e32 v24, v18, v24
	v_sub_f32_e32 v17, v17, v24
	v_mul_f32_e32 v24, v15, v18
	v_fma_f32 v18, v15, v18, -v24
	v_fmac_f32_e32 v18, v15, v17
	v_add_f32_e32 v17, v24, v18
	v_cmp_class_f32_e64 vcc, v24, s79
	v_sub_f32_e32 v25, v17, v24
	v_cndmask_b32_e32 v17, v17, v24, vcc
	v_sub_f32_e32 v18, v18, v25
	v_cmp_neq_f32_e64 vcc, |v17|, s78
	v_cndmask_b32_e32 v18, 0, v18, vcc
	v_cmp_eq_f32_e32 vcc, s83, v17
	v_mov_b32_e32 v43, 0x37000000
	v_cndmask_b32_e32 v24, 0, v43, vcc
	v_sub_f32_e32 v17, v17, v24
	v_add_f32_e32 v18, v24, v18
	v_mul_f32_e32 v24, 0x3fb8aa3b, v17
	v_fma_f32 v25, v17, s80, -v24
	v_rndne_f32_e32 v26, v24
	v_fmac_f32_e32 v25, 0x32a5705f, v17
	v_sub_f32_e32 v24, v24, v26
	v_add_f32_e32 v24, v24, v25
	v_exp_f32_e32 v24, v24
	v_cvt_i32_f32_e32 v25, v26
	v_cmp_ngt_f32_e32 vcc, s82, v17
	v_ldexp_f32 v24, v24, v25
	v_cndmask_b32_e32 v24, 0, v24, vcc
	v_cmp_nlt_f32_e32 vcc, s83, v17
	v_cndmask_b32_e32 v17, v50, v24, vcc
	v_fma_f32 v18, v17, v18, v17
	v_cmp_class_f32_e64 vcc, v17, s79
	v_cndmask_b32_e32 v17, v18, v17, vcc
	v_trunc_f32_e32 v18, v15
	v_cmp_eq_f32_e32 vcc, v18, v15
	v_mul_f32_e32 v18, 0.5, v15
	v_trunc_f32_e32 v24, v18
	v_cmp_neq_f32_e64 s[0:1], v24, v18
	s_and_b64 vcc, vcc, s[0:1]
	v_cndmask_b32_e32 v18, 1.0, v16, vcc
	v_bfi_b32 v17, s64, v17, v18
	v_cndmask_b32_e64 v18, v50, 0, s[2:3]
	v_cmp_neq_f32_e64 s[2:3], |v16|, 1.0
	v_cmp_class_f32_e64 s[0:1], v15, s79
	v_cndmask_b32_e64 v18, 1.0, v18, s[2:3]
	v_cndmask_b32_e64 v17, v17, v18, s[0:1]
	v_cmp_class_f32_e64 s[2:3], v16, s79
	v_cmp_eq_f32_e64 s[0:1], 0, v16
	s_or_b64 s[2:3], s[0:1], s[2:3]
	s_xor_b64 s[0:1], s[4:5], s[0:1]
	v_cndmask_b32_e64 v18, v50, 0, s[0:1]
	v_cndmask_b32_e32 v24, 0, v16, vcc
	v_bfi_b32 v18, s64, v18, v24
	v_cndmask_b32_e64 v17, v17, v18, s[2:3]
	v_cmp_o_f32_e32 vcc, v16, v15
	v_cndmask_b32_e32 v15, v27, v17, vcc
	v_mul_f32_e32 v16, v36, v15
	v_mul_f32_e32 v7, v7, v15
	buffer_store_dword v16, off, s[88:91], 0 offset:40 ; 4-byte Folded Spill
	buffer_store_dword v7, off, s[88:91], 0 offset:44 ; 4-byte Folded Spill
	buffer_load_dword v7, off, s[88:91], 0 offset:196 ; 4-byte Folded Reload
	s_nop 0
	buffer_load_dword v15, off, s[88:91], 0 offset:200 ; 4-byte Folded Reload
	buffer_load_dword v16, off, s[88:91], 0 offset:208 ; 4-byte Folded Reload
	v_mov_b32_e32 v17, 0x3c0881c4
	s_waitcnt vmcnt(2)
	v_cndmask_b32_e64 v7, v7, v23, s[44:45]
	s_waitcnt vmcnt(0)
	v_cndmask_b32_e64 v15, v15, v16, s[44:45]
	v_mul_f32_e32 v16, v7, v7
	v_fmac_f32_e32 v17, 0xb94c1982, v16
	v_fma_f32 v17, v16, v17, v1
	v_mul_f32_e32 v17, v16, v17
	v_fmac_f32_e32 v7, v7, v17
	v_mov_b32_e32 v17, 0xbab64f3b
	v_fmac_f32_e32 v17, 0x37d75334, v16
	v_fma_f32 v17, v16, v17, v58
	v_fma_f32 v17, v16, v17, v57
	v_fma_f32 v16, v16, v17, 1.0
	v_and_b32_e32 v17, 1, v15
	v_cmp_eq_u32_e32 vcc, 0, v17
	v_cndmask_b32_e64 v17, -v7, v16, vcc
	v_cndmask_b32_e32 v7, v16, v7, vcc
	v_lshlrev_b32_e32 v15, 30, v15
	v_xor_b32_e32 v7, v28, v7
	v_and_b32_e32 v15, 0x80000000, v15
	v_xor_b32_e32 v7, v7, v9
	v_xor_b32_e32 v17, v15, v17
	;; [unrolled: 1-line block ×3, first 2 shown]
	v_cndmask_b32_e64 v17, v27, v17, s[48:49]
	v_cndmask_b32_e64 v7, v27, v7, s[48:49]
	v_mul_f32_e32 v17, v44, v17
	v_mul_f32_e32 v7, v44, v7
	buffer_store_dword v17, off, s[88:91], 0 offset:152 ; 4-byte Folded Spill
	buffer_store_dword v7, off, s[88:91], 0 offset:168 ; 4-byte Folded Spill
	buffer_load_dword v7, off, s[88:91], 0 offset:120 ; 4-byte Folded Reload
	s_nop 0
	buffer_load_dword v9, off, s[88:91], 0 offset:124 ; 4-byte Folded Reload
	buffer_load_dword v15, off, s[88:91], 0 offset:128 ; 4-byte Folded Reload
	v_mov_b32_e32 v17, 0xbf039337
	v_mov_b32_e32 v16, 0x3ec54587
	s_mov_b32 s48, 0x3c23d70a
	s_mov_b32 s49, 0x3e9a209a
	s_waitcnt vmcnt(2)
	v_cndmask_b32_e64 v7, v7, v29, s[16:17]
	s_waitcnt vmcnt(0)
	v_cndmask_b32_e64 v9, v9, v15, s[16:17]
	v_mul_f32_e32 v15, v7, v7
	v_fmac_f32_e32 v17, 0x3c971480, v15
	v_fma_f32 v17, v15, v17, v59
	v_rcp_f32_e32 v17, v17
	v_fmac_f32_e32 v16, 0xbc8cedd3, v15
	v_and_b32_e32 v9, 1, v9
	v_cmp_eq_u32_e32 vcc, 0, v9
	v_mul_f32_e32 v16, v16, v17
	v_mul_f32_e32 v15, v15, v16
	v_fma_f32 v16, v15, v7, v7
	v_sub_f32_e32 v17, v16, v7
	v_fma_f32 v7, v15, v7, -v17
	v_rcp_f32_e32 v15, v16
	v_fma_f32 v17, v16, -v15, 1.0
	v_fma_f32 v7, v7, -v15, v17
	v_fma_f32 v7, v7, -v15, -v15
	v_cndmask_b32_e32 v7, v7, v16, vcc
	v_xor_b32_e32 v6, v6, v7
	v_xor_b32_e32 v6, v6, v31
	v_cndmask_b32_e64 v31, v27, v6, s[20:21]
	v_and_b32_e32 v41, 0x7fffffff, v31
	v_lshrrev_b32_e32 v6, 23, v41
	v_add_u32_e32 v6, 0xffffff88, v6
	v_cmp_lt_u32_e32 vcc, 63, v6
	v_cndmask_b32_e32 v7, 0, v21, vcc
	v_add_u32_e32 v6, v7, v6
	v_cmp_lt_u32_e64 s[0:1], 31, v6
	v_cndmask_b32_e64 v7, 0, v22, s[0:1]
	v_add_u32_e32 v6, v7, v6
	v_cmp_lt_u32_e64 s[2:3], 31, v6
	v_cndmask_b32_e64 v7, 0, v22, s[2:3]
	v_add_u32_e32 v9, v7, v6
	v_and_b32_e32 v6, 0x7fffff, v41
	v_or_b32_e32 v18, 0x800000, v6
	v_mad_u64_u32 v[15:16], s[8:9], v18, s67, 0
	v_cmp_eq_u32_e64 s[4:5], 0, v9
	v_cmp_lt_f32_e64 s[16:17], |v31|, s33
	v_mov_b32_e32 v7, v16
	v_mad_u64_u32 v[23:24], s[8:9], v18, s68, v[7:8]
	v_cmp_class_f32_e64 s[20:21], v31, s77
	v_mov_b32_e32 v7, v24
	v_mad_u64_u32 v[16:17], s[8:9], v18, s69, v[7:8]
	v_mov_b32_e32 v7, v17
	v_mad_u64_u32 v[28:29], s[8:9], v18, s70, v[7:8]
	v_cndmask_b32_e32 v15, v16, v15, vcc
	v_mov_b32_e32 v7, v29
	v_mad_u64_u32 v[6:7], s[8:9], v18, s71, v[7:8]
	v_mad_u64_u32 v[46:47], s[8:9], v18, s72, v[7:8]
	v_mov_b32_e32 v7, v47
	v_mad_u64_u32 v[24:25], s[8:9], v18, s73, v[7:8]
	v_cndmask_b32_e32 v17, v46, v28, vcc
	v_cndmask_b32_e32 v7, v24, v6, vcc
	;; [unrolled: 1-line block ×3, first 2 shown]
	v_cndmask_b32_e64 v18, v7, v17, s[0:1]
	v_cndmask_b32_e64 v7, v24, v7, s[0:1]
	v_cndmask_b32_e32 v25, v6, v16, vcc
	v_cndmask_b32_e64 v24, v7, v18, s[2:3]
	v_cndmask_b32_e64 v17, v17, v25, s[0:1]
	v_sub_u32_e32 v7, 32, v9
	v_cndmask_b32_e32 v9, v28, v23, vcc
	v_cndmask_b32_e64 v18, v18, v17, s[2:3]
	v_cndmask_b32_e64 v23, v25, v9, s[0:1]
	v_alignbit_b32 v6, v24, v18, v7
	v_cndmask_b32_e64 v17, v17, v23, s[2:3]
	v_cndmask_b32_e64 v6, v6, v24, s[4:5]
	v_alignbit_b32 v24, v18, v17, v7
	v_cndmask_b32_e64 v18, v24, v18, s[4:5]
	v_bfe_u32 v26, v6, 29, 1
	v_cndmask_b32_e64 v9, v9, v15, s[0:1]
	v_alignbit_b32 v24, v6, v18, 30
	v_sub_u32_e32 v28, 0, v26
	v_cndmask_b32_e64 v9, v23, v9, s[2:3]
	v_xor_b32_e32 v24, v24, v28
	v_alignbit_b32 v7, v17, v9, v7
	v_cndmask_b32_e64 v7, v7, v17, s[4:5]
	v_ffbh_u32_e32 v16, v24
	v_alignbit_b32 v15, v18, v7, 30
	v_min_u32_e32 v16, 32, v16
	v_alignbit_b32 v7, v7, v9, 30
	v_xor_b32_e32 v15, v15, v28
	v_sub_u32_e32 v17, 31, v16
	v_xor_b32_e32 v7, v7, v28
	v_alignbit_b32 v18, v24, v15, v17
	v_alignbit_b32 v7, v15, v7, v17
	;; [unrolled: 1-line block ×3, first 2 shown]
	v_ffbh_u32_e32 v15, v9
	v_min_u32_e32 v15, 32, v15
	v_lshrrev_b32_e32 v25, 29, v6
	v_not_b32_e32 v17, v15
	v_alignbit_b32 v7, v9, v7, v17
	v_lshlrev_b32_e32 v9, 31, v25
	v_or_b32_e32 v17, 0x33000000, v9
	v_add_lshl_u32 v15, v15, v16, 23
	v_lshrrev_b32_e32 v7, 9, v7
	v_sub_u32_e32 v15, v17, v15
	v_or_b32_e32 v9, 0.5, v9
	v_lshlrev_b32_e32 v16, 23, v16
	v_lshrrev_b32_e32 v6, 30, v6
	v_or_b32_e32 v7, v15, v7
	v_lshrrev_b32_e32 v15, 9, v18
	v_sub_u32_e32 v9, v9, v16
	v_add_u32_e32 v26, v26, v6
	v_mul_f32_e64 v6, |v31|, s75
	v_or_b32_e32 v9, v15, v9
	v_rndne_f32_e32 v6, v6
	v_mul_f32_e32 v15, 0x3fc90fda, v9
	v_fma_f32 v37, v6, s76, |v31|
	v_fma_f32 v16, v9, s74, -v15
	v_fmac_f32_e32 v37, 0xb3a22168, v6
	v_fmac_f32_e32 v16, 0x33a22168, v9
	;; [unrolled: 1-line block ×3, first 2 shown]
	v_cvt_i32_f32_e32 v47, v6
	buffer_load_dword v6, off, s[88:91], 0 offset:60 ; 4-byte Folded Reload
	v_fmac_f32_e32 v16, 0x3fc90fda, v7
	buffer_load_dword v7, off, s[88:91], 0 offset:100 ; 4-byte Folded Reload
	buffer_load_dword v9, off, s[88:91], 0 offset:104 ; 4-byte Folded Reload
	v_add_f32_e32 v24, v15, v16
	s_waitcnt vmcnt(2)
	v_cndmask_b32_e64 v6, v6, v62, s[12:13]
	s_waitcnt vmcnt(0)
	v_cndmask_b32_e64 v7, v7, v9, s[12:13]
	v_mul_f32_e32 v9, v6, v6
	v_fmac_f32_e32 v60, 0x3c971480, v9
	v_fma_f32 v15, v9, v60, v59
	v_rcp_f32_e32 v15, v15
	v_fmac_f32_e32 v45, 0xbc8cedd3, v9
	v_and_b32_e32 v7, 1, v7
	v_cmp_eq_u32_e32 vcc, 0, v7
	v_mul_f32_e32 v15, v45, v15
	v_mul_f32_e32 v9, v9, v15
	v_fma_f32 v15, v9, v6, v6
	v_sub_f32_e32 v16, v15, v6
	v_fma_f32 v6, v9, v6, -v16
	v_rcp_f32_e32 v9, v15
	v_mul_f32_e32 v7, 0x40400000, v51
	v_fma_f32 v16, v15, -v9, 1.0
	v_fma_f32 v6, v6, -v9, v16
	v_fma_f32 v6, v6, -v9, -v9
	v_cndmask_b32_e32 v6, v6, v15, vcc
	v_xor_b32_e32 v6, v7, v6
	v_xor_b32_e32 v6, v6, v52
	v_cndmask_b32_e64 v29, v27, v6, s[14:15]
	v_and_b32_e32 v6, 0x7fffffff, v29
	v_lshrrev_b32_e32 v7, 23, v6
	v_add_u32_e32 v7, 0xffffff88, v7
	v_cmp_lt_u32_e32 vcc, 63, v7
	v_cndmask_b32_e32 v9, 0, v21, vcc
	v_add_u32_e32 v7, v9, v7
	v_cmp_lt_u32_e64 s[0:1], 31, v7
	v_cndmask_b32_e64 v9, 0, v22, s[0:1]
	v_add_u32_e32 v7, v9, v7
	v_cmp_lt_u32_e64 s[2:3], 31, v7
	v_cndmask_b32_e64 v9, 0, v22, s[2:3]
	v_add_u32_e32 v9, v9, v7
	v_and_b32_e32 v7, 0x7fffff, v6
	v_or_b32_e32 v18, 0x800000, v7
	v_mad_u64_u32 v[15:16], s[8:9], v18, s67, 0
	v_cmp_eq_u32_e64 s[4:5], 0, v9
	v_sub_u32_e32 v9, 32, v9
	v_mov_b32_e32 v7, v16
	v_mad_u64_u32 v[44:45], s[8:9], v18, s68, v[7:8]
	v_cmp_lt_f32_e64 s[24:25], |v29|, s33
	v_cmp_class_f32_e64 s[34:35], v29, s77
	v_mov_b32_e32 v7, v45
	v_mad_u64_u32 v[16:17], s[8:9], v18, s69, v[7:8]
	v_mov_b32_e32 v7, v17
	v_mad_u64_u32 v[45:46], s[8:9], v18, s70, v[7:8]
	v_cndmask_b32_e32 v15, v16, v15, vcc
	v_mov_b32_e32 v7, v46
	v_mad_u64_u32 v[52:53], s[8:9], v18, s71, v[7:8]
	v_mov_b32_e32 v7, v53
	v_mad_u64_u32 v[59:60], s[8:9], v18, s72, v[7:8]
	;; [unrolled: 2-line block ×3, first 2 shown]
	v_cndmask_b32_e32 v23, v59, v45, vcc
	v_cndmask_b32_e32 v7, v17, v52, vcc
	;; [unrolled: 1-line block ×3, first 2 shown]
	v_cndmask_b32_e64 v17, v7, v23, s[0:1]
	v_cndmask_b32_e64 v7, v18, v7, s[0:1]
	v_cndmask_b32_e32 v18, v52, v16, vcc
	v_cndmask_b32_e64 v23, v23, v18, s[0:1]
	v_cndmask_b32_e64 v7, v7, v17, s[2:3]
	;; [unrolled: 1-line block ×3, first 2 shown]
	v_alignbit_b32 v25, v7, v17, v9
	v_cndmask_b32_e64 v7, v25, v7, s[4:5]
	v_cndmask_b32_e32 v25, v45, v44, vcc
	v_cndmask_b32_e64 v18, v18, v25, s[0:1]
	v_cndmask_b32_e64 v23, v23, v18, s[2:3]
	v_alignbit_b32 v28, v17, v23, v9
	v_cndmask_b32_e64 v15, v25, v15, s[0:1]
	v_cndmask_b32_e64 v17, v28, v17, s[4:5]
	v_bfe_u32 v44, v7, 29, 1
	v_cndmask_b32_e64 v15, v18, v15, s[2:3]
	v_alignbit_b32 v28, v7, v17, 30
	v_sub_u32_e32 v45, 0, v44
	v_alignbit_b32 v9, v23, v15, v9
	v_xor_b32_e32 v28, v28, v45
	v_cndmask_b32_e64 v9, v9, v23, s[4:5]
	v_alignbit_b32 v16, v17, v9, 30
	v_ffbh_u32_e32 v17, v28
	v_min_u32_e32 v17, 32, v17
	v_alignbit_b32 v9, v9, v15, 30
	v_xor_b32_e32 v16, v16, v45
	v_sub_u32_e32 v18, 31, v17
	v_xor_b32_e32 v9, v9, v45
	v_alignbit_b32 v23, v28, v16, v18
	v_alignbit_b32 v9, v16, v9, v18
	;; [unrolled: 1-line block ×3, first 2 shown]
	v_ffbh_u32_e32 v16, v15
	v_min_u32_e32 v16, 32, v16
	v_lshrrev_b32_e32 v33, 29, v7
	v_not_b32_e32 v18, v16
	v_alignbit_b32 v9, v15, v9, v18
	v_lshlrev_b32_e32 v15, 31, v33
	v_or_b32_e32 v18, 0x33000000, v15
	v_add_lshl_u32 v16, v16, v17, 23
	v_lshrrev_b32_e32 v9, 9, v9
	v_sub_u32_e32 v16, v18, v16
	v_lshrrev_b32_e32 v7, 30, v7
	v_or_b32_e32 v9, v16, v9
	v_lshrrev_b32_e32 v16, 9, v23
	v_add_u32_e32 v23, v44, v7
	v_mul_f32_e64 v7, |v29|, s75
	v_rndne_f32_e32 v7, v7
	v_fma_f32 v53, v7, s76, |v29|
	v_fmac_f32_e32 v53, 0xb3a22168, v7
	v_fmac_f32_e32 v53, 0xa7c234c4, v7
	v_cvt_i32_f32_e32 v46, v7
	buffer_load_dword v7, off, s[88:91], 0 offset:108 ; 4-byte Folded Reload
	v_or_b32_e32 v15, 0.5, v15
	v_lshlrev_b32_e32 v17, 23, v17
	v_sub_u32_e32 v15, v15, v17
	v_or_b32_e32 v15, v16, v15
	v_mul_f32_e32 v16, 0x3fc90fda, v15
	v_fma_f32 v17, v15, s74, -v16
	v_fmac_f32_e32 v17, 0x33a22168, v15
	v_fmac_f32_e32 v17, 0x3fc90fda, v9
	v_add_f32_e32 v9, v16, v17
	v_mov_b32_e32 v16, 0x3c0881c4
	v_mov_b32_e32 v17, 0x40400000
	v_not_b32_e32 v52, 63
	s_waitcnt vmcnt(0)
	v_cndmask_b32_e64 v7, v7, v10, s[18:19]
	buffer_load_dword v10, off, s[88:91], 0 offset:112 ; 4-byte Folded Reload
	buffer_load_dword v15, off, s[88:91], 0 offset:116 ; 4-byte Folded Reload
	s_waitcnt vmcnt(0)
	v_cndmask_b32_e64 v10, v10, v15, s[18:19]
	v_mul_f32_e32 v15, v7, v7
	v_fmac_f32_e32 v16, 0xb94c1982, v15
	v_fma_f32 v16, v15, v16, v1
	v_mul_f32_e32 v16, v15, v16
	v_fmac_f32_e32 v7, v7, v16
	v_mov_b32_e32 v16, 0xbab64f3b
	v_fmac_f32_e32 v16, 0x37d75334, v15
	v_fma_f32 v16, v15, v16, v58
	v_fma_f32 v16, v15, v16, v57
	v_fma_f32 v15, v15, v16, 1.0
	v_and_b32_e32 v16, 1, v10
	v_cmp_eq_u32_e32 vcc, 0, v16
	v_lshlrev_b32_e32 v10, 30, v10
	v_cndmask_b32_e32 v7, v15, v7, vcc
	v_and_b32_e32 v10, 0x80000000, v10
	v_add_f32_e32 v15, v20, v54
	v_xor_b32_e32 v10, v10, v15
	v_xor_b32_e32 v7, v10, v7
	;; [unrolled: 1-line block ×3, first 2 shown]
	v_cndmask_b32_e64 v7, v27, v7, s[22:23]
	v_cmp_eq_f32_e32 vcc, 1.0, v7
	v_frexp_mant_f32_e64 v15, |v7|
	v_cndmask_b32_e64 v10, v17, 1.0, vcc
	v_cmp_gt_f32_e32 vcc, s6, v15
	v_cndmask_b32_e64 v16, 1.0, 2.0, vcc
	v_mul_f32_e32 v15, v15, v16
	v_add_f32_e32 v18, 1.0, v15
	v_add_f32_e32 v25, -1.0, v18
	v_add_f32_e32 v16, -1.0, v15
	v_sub_f32_e32 v15, v15, v25
	v_rcp_f32_e32 v25, v18
	v_cmp_gt_f32_e64 s[2:3], 0, v7
	buffer_load_dword v62, off, s[88:91], 0 offset:88 ; 4-byte Folded Reload
	buffer_load_dword v63, off, s[88:91], 0 offset:92 ; 4-byte Folded Reload
	v_mul_f32_e32 v28, v16, v25
	v_mul_f32_e32 v33, v18, v28
	v_fma_f32 v18, v28, v18, -v33
	v_fmac_f32_e32 v18, v28, v15
	v_add_f32_e32 v15, v33, v18
	v_sub_f32_e32 v44, v16, v15
	v_sub_f32_e32 v33, v15, v33
	;; [unrolled: 1-line block ×5, first 2 shown]
	v_add_f32_e32 v15, v16, v15
	v_add_f32_e32 v15, v44, v15
	v_mul_f32_e32 v15, v25, v15
	v_add_f32_e32 v18, v28, v15
	v_sub_f32_e32 v16, v18, v28
	v_sub_f32_e32 v25, v15, v16
	v_mul_f32_e32 v15, v18, v18
	v_fma_f32 v16, v18, v18, -v15
	v_add_f32_e32 v28, v25, v25
	v_fmac_f32_e32 v16, v18, v28
	v_add_f32_e32 v28, v15, v16
	v_sub_f32_e32 v15, v28, v15
	v_sub_f32_e32 v15, v16, v15
	v_mul_f32_e32 v16, v18, v28
	v_fma_f32 v44, v28, v18, -v16
	v_fmac_f32_e32 v44, v28, v25
	v_mov_b32_e32 v33, 0x3e91f4c4
	v_fmac_f32_e32 v44, v15, v18
	v_fmac_f32_e32 v33, 0x3e76c4e1, v28
	v_add_f32_e32 v45, v16, v44
	v_fma_f32 v33, v28, v33, v32
	v_sub_f32_e32 v16, v45, v16
	v_sub_f32_e32 v16, v44, v16
	v_mul_f32_e32 v44, v28, v33
	v_fma_f32 v28, v28, v33, -v44
	v_fmac_f32_e32 v28, v15, v33
	v_add_f32_e32 v15, v44, v28
	v_add_f32_e32 v33, 0x3f2aaaaa, v15
	v_sub_f32_e32 v44, v15, v44
	v_sub_f32_e32 v28, v28, v44
	v_add_f32_e32 v44, 0xbf2aaaaa, v33
	v_add_f32_e32 v28, 0x31739010, v28
	v_sub_f32_e32 v15, v15, v44
	v_add_f32_e32 v15, v28, v15
	v_add_f32_e32 v28, v33, v15
	v_sub_f32_e32 v33, v33, v28
	v_add_f32_e32 v15, v15, v33
	v_mul_f32_e32 v33, v45, v28
	v_fma_f32 v44, v45, v28, -v33
	v_fmac_f32_e32 v44, v45, v15
	v_fmac_f32_e32 v44, v16, v28
	v_cvt_f64_f32_e64 v[15:16], |v7|
	v_ldexp_f32 v18, v18, 1
	v_frexp_exp_i32_f64_e32 v15, v[15:16]
	v_subbrev_co_u32_e32 v15, vcc, 0, v15, vcc
	v_cvt_f32_i32_e32 v15, v15
	v_mul_f32_e32 v16, 0x3f317218, v15
	v_fma_f32 v28, v15, s81, -v16
	v_fmac_f32_e32 v28, 0xb102e308, v15
	v_ldexp_f32 v15, v25, 1
	v_add_f32_e32 v25, v16, v28
	v_sub_f32_e32 v16, v25, v16
	v_sub_f32_e32 v16, v28, v16
	v_add_f32_e32 v28, v33, v44
	v_sub_f32_e32 v33, v28, v33
	v_sub_f32_e32 v33, v44, v33
	;; [unrolled: 3-line block ×3, first 2 shown]
	v_add_f32_e32 v15, v15, v33
	v_add_f32_e32 v15, v15, v18
	;; [unrolled: 1-line block ×3, first 2 shown]
	v_sub_f32_e32 v28, v18, v44
	v_sub_f32_e32 v15, v15, v28
	v_add_f32_e32 v28, v25, v18
	v_sub_f32_e32 v33, v28, v25
	v_sub_f32_e32 v44, v28, v33
	;; [unrolled: 1-line block ×4, first 2 shown]
	v_add_f32_e32 v18, v18, v25
	v_add_f32_e32 v25, v16, v15
	v_sub_f32_e32 v33, v25, v16
	v_sub_f32_e32 v44, v25, v33
	;; [unrolled: 1-line block ×4, first 2 shown]
	v_add_f32_e32 v15, v15, v16
	v_add_f32_e32 v16, v25, v18
	;; [unrolled: 1-line block ×3, first 2 shown]
	v_sub_f32_e32 v25, v18, v28
	v_sub_f32_e32 v16, v16, v25
	v_add_f32_e32 v15, v15, v16
	v_add_f32_e32 v16, v18, v15
	v_sub_f32_e32 v18, v16, v18
	v_sub_f32_e32 v15, v15, v18
	v_mul_f32_e32 v18, v10, v16
	v_fma_f32 v16, v10, v16, -v18
	v_fmac_f32_e32 v16, v10, v15
	v_add_f32_e32 v15, v18, v16
	v_cmp_class_f32_e64 vcc, v18, s79
	v_sub_f32_e32 v25, v15, v18
	v_cndmask_b32_e32 v15, v15, v18, vcc
	v_sub_f32_e32 v16, v16, v25
	v_cmp_neq_f32_e64 vcc, |v15|, s78
	v_cndmask_b32_e32 v16, 0, v16, vcc
	v_cmp_eq_f32_e32 vcc, s83, v15
	v_cndmask_b32_e32 v18, 0, v43, vcc
	v_sub_f32_e32 v15, v15, v18
	v_add_f32_e32 v16, v18, v16
	v_mul_f32_e32 v18, 0x3fb8aa3b, v15
	v_fma_f32 v25, v15, s80, -v18
	v_rndne_f32_e32 v28, v18
	v_fmac_f32_e32 v25, 0x32a5705f, v15
	v_sub_f32_e32 v18, v18, v28
	v_add_f32_e32 v18, v18, v25
	v_exp_f32_e32 v18, v18
	v_cvt_i32_f32_e32 v25, v28
	v_cmp_ngt_f32_e32 vcc, s82, v15
	v_ldexp_f32 v18, v18, v25
	v_cndmask_b32_e32 v18, 0, v18, vcc
	v_cmp_nlt_f32_e32 vcc, s83, v15
	v_cndmask_b32_e32 v15, v50, v18, vcc
	v_fma_f32 v16, v15, v16, v15
	v_cmp_class_f32_e64 vcc, v15, s79
	v_cndmask_b32_e32 v15, v16, v15, vcc
	v_trunc_f32_e32 v16, v10
	v_cmp_eq_f32_e32 vcc, v16, v10
	v_mul_f32_e32 v10, 0.5, v10
	v_trunc_f32_e32 v16, v10
	v_cmp_neq_f32_e64 s[0:1], v16, v10
	s_and_b64 s[0:1], vcc, s[0:1]
	v_cndmask_b32_e64 v10, 1.0, v7, s[0:1]
	v_bfi_b32 v10, s64, v15, v10
	v_cndmask_b32_e32 v15, v27, v10, vcc
	v_cmp_eq_f32_e32 vcc, 0, v7
	v_cndmask_b32_e64 v10, v10, v15, s[2:3]
	v_cmp_class_f32_e64 s[2:3], v7, s79
	v_cndmask_b32_e64 v15, v50, 0, vcc
	v_cndmask_b32_e64 v16, 0, v7, s[0:1]
	s_or_b64 s[2:3], vcc, s[2:3]
	v_bfi_b32 v15, s64, v15, v16
	v_cndmask_b32_e64 v10, v10, v15, s[2:3]
	v_cmp_o_f32_e32 vcc, v7, v7
	v_cndmask_b32_e32 v16, v27, v10, vcc
	buffer_load_dword v10, off, s[88:91], 0 offset:132 ; 4-byte Folded Reload
	v_mov_b32_e32 v18, 0x3c0881c4
	s_waitcnt vmcnt(0)
	v_cndmask_b32_e64 v10, v10, v13, s[26:27]
	buffer_load_dword v13, off, s[88:91], 0 offset:136 ; 4-byte Folded Reload
	buffer_load_dword v15, off, s[88:91], 0 offset:140 ; 4-byte Folded Reload
	s_waitcnt vmcnt(0)
	v_cndmask_b32_e64 v15, v13, v15, s[26:27]
	v_mul_f32_e32 v13, v10, v10
	v_fmac_f32_e32 v18, 0xb94c1982, v13
	v_fma_f32 v18, v13, v18, v1
	v_mul_f32_e32 v18, v13, v18
	v_fmac_f32_e32 v10, v10, v18
	v_mov_b32_e32 v18, 0xbab64f3b
	v_fmac_f32_e32 v18, 0x37d75334, v13
	v_fma_f32 v18, v13, v18, v58
	v_fma_f32 v18, v13, v18, v57
	v_fma_f32 v13, v13, v18, 1.0
	v_and_b32_e32 v18, 1, v15
	v_cmp_eq_u32_e64 s[0:1], 0, v18
	v_cndmask_b32_e64 v18, v13, v10, s[0:1]
	v_lshlrev_b32_e32 v15, 30, v15
	v_xor_b32_e32 v11, v11, v18
	v_and_b32_e32 v15, 0x80000000, v15
	v_xor_b32_e32 v11, v11, v12
	v_xor_b32_e32 v11, v11, v15
	v_cndmask_b32_e64 v11, v27, v11, s[28:29]
	v_cmp_eq_f32_e32 vcc, 1.0, v11
	v_cndmask_b32_e64 v12, v17, 1.0, vcc
	v_frexp_mant_f32_e64 v17, |v11|
	v_cmp_gt_f32_e32 vcc, s6, v17
	v_cndmask_b32_e64 v18, 1.0, 2.0, vcc
	v_mul_f32_e32 v17, v17, v18
	v_add_f32_e32 v25, 1.0, v17
	v_add_f32_e32 v28, -1.0, v25
	v_add_f32_e32 v18, -1.0, v17
	v_sub_f32_e32 v17, v17, v28
	v_rcp_f32_e32 v28, v25
	v_cmp_gt_f32_e64 s[4:5], 0, v11
	v_mul_f32_e32 v33, v18, v28
	v_mul_f32_e32 v44, v25, v33
	v_fma_f32 v25, v33, v25, -v44
	v_fmac_f32_e32 v25, v33, v17
	v_add_f32_e32 v17, v44, v25
	v_sub_f32_e32 v45, v18, v17
	v_sub_f32_e32 v44, v17, v44
	;; [unrolled: 1-line block ×5, first 2 shown]
	v_add_f32_e32 v17, v18, v17
	v_add_f32_e32 v17, v45, v17
	v_mul_f32_e32 v17, v28, v17
	v_add_f32_e32 v25, v33, v17
	v_sub_f32_e32 v18, v25, v33
	v_sub_f32_e32 v28, v17, v18
	v_mul_f32_e32 v17, v25, v25
	v_fma_f32 v18, v25, v25, -v17
	v_add_f32_e32 v33, v28, v28
	v_fmac_f32_e32 v18, v25, v33
	v_add_f32_e32 v33, v17, v18
	v_sub_f32_e32 v17, v33, v17
	v_fmac_f32_e32 v39, 0x3e76c4e1, v33
	v_sub_f32_e32 v17, v18, v17
	v_mul_f32_e32 v18, v25, v33
	v_fmac_f32_e32 v32, v33, v39
	v_fma_f32 v39, v33, v25, -v18
	v_fmac_f32_e32 v39, v33, v28
	v_fmac_f32_e32 v39, v17, v25
	v_add_f32_e32 v44, v18, v39
	v_sub_f32_e32 v18, v44, v18
	v_sub_f32_e32 v18, v39, v18
	v_mul_f32_e32 v39, v33, v32
	v_fma_f32 v33, v33, v32, -v39
	v_fmac_f32_e32 v33, v17, v32
	v_add_f32_e32 v17, v39, v33
	v_add_f32_e32 v32, 0x3f2aaaaa, v17
	v_sub_f32_e32 v39, v17, v39
	v_sub_f32_e32 v33, v33, v39
	v_add_f32_e32 v39, 0xbf2aaaaa, v32
	v_add_f32_e32 v33, 0x31739010, v33
	v_sub_f32_e32 v17, v17, v39
	v_add_f32_e32 v17, v33, v17
	v_add_f32_e32 v33, v32, v17
	v_sub_f32_e32 v32, v32, v33
	v_add_f32_e32 v17, v17, v32
	v_mul_f32_e32 v32, v44, v33
	v_fma_f32 v39, v44, v33, -v32
	v_fmac_f32_e32 v39, v44, v17
	v_fmac_f32_e32 v39, v18, v33
	v_cvt_f64_f32_e64 v[17:18], |v11|
	v_ldexp_f32 v25, v25, 1
	v_frexp_exp_i32_f64_e32 v17, v[17:18]
	v_subbrev_co_u32_e32 v17, vcc, 0, v17, vcc
	v_cvt_f32_i32_e32 v17, v17
	v_mul_f32_e32 v18, 0x3f317218, v17
	v_fma_f32 v33, v17, s81, -v18
	v_fmac_f32_e32 v33, 0xb102e308, v17
	v_ldexp_f32 v17, v28, 1
	v_add_f32_e32 v28, v18, v33
	v_sub_f32_e32 v18, v28, v18
	v_sub_f32_e32 v18, v33, v18
	v_add_f32_e32 v33, v32, v39
	v_sub_f32_e32 v32, v33, v32
	v_sub_f32_e32 v32, v39, v32
	;; [unrolled: 3-line block ×3, first 2 shown]
	v_add_f32_e32 v17, v17, v32
	v_add_f32_e32 v17, v17, v25
	;; [unrolled: 1-line block ×3, first 2 shown]
	v_sub_f32_e32 v32, v25, v39
	v_sub_f32_e32 v17, v17, v32
	v_add_f32_e32 v32, v28, v25
	v_sub_f32_e32 v33, v32, v28
	v_sub_f32_e32 v39, v32, v33
	;; [unrolled: 1-line block ×4, first 2 shown]
	v_add_f32_e32 v25, v25, v28
	v_add_f32_e32 v28, v18, v17
	v_sub_f32_e32 v33, v28, v18
	v_sub_f32_e32 v39, v28, v33
	;; [unrolled: 1-line block ×4, first 2 shown]
	v_add_f32_e32 v17, v17, v18
	v_add_f32_e32 v18, v28, v25
	;; [unrolled: 1-line block ×3, first 2 shown]
	v_sub_f32_e32 v28, v25, v32
	v_sub_f32_e32 v18, v18, v28
	v_add_f32_e32 v17, v17, v18
	v_add_f32_e32 v18, v25, v17
	v_sub_f32_e32 v25, v18, v25
	v_sub_f32_e32 v17, v17, v25
	v_mul_f32_e32 v25, v12, v18
	v_fma_f32 v18, v12, v18, -v25
	v_fmac_f32_e32 v18, v12, v17
	v_add_f32_e32 v17, v25, v18
	v_cmp_class_f32_e64 vcc, v25, s79
	v_sub_f32_e32 v28, v17, v25
	v_cndmask_b32_e32 v17, v17, v25, vcc
	v_sub_f32_e32 v18, v18, v28
	v_cmp_neq_f32_e64 vcc, |v17|, s78
	v_cndmask_b32_e32 v18, 0, v18, vcc
	v_cmp_eq_f32_e32 vcc, s83, v17
	v_cndmask_b32_e32 v25, 0, v43, vcc
	v_sub_f32_e32 v17, v17, v25
	v_add_f32_e32 v18, v25, v18
	v_mul_f32_e32 v25, 0x3fb8aa3b, v17
	v_fma_f32 v28, v17, s80, -v25
	v_rndne_f32_e32 v32, v25
	v_fmac_f32_e32 v28, 0x32a5705f, v17
	v_sub_f32_e32 v25, v25, v32
	v_add_f32_e32 v25, v25, v28
	v_exp_f32_e32 v25, v25
	v_cvt_i32_f32_e32 v28, v32
	v_cmp_ngt_f32_e32 vcc, s82, v17
	v_ldexp_f32 v25, v25, v28
	v_cndmask_b32_e32 v25, 0, v25, vcc
	v_cmp_nlt_f32_e32 vcc, s83, v17
	v_cndmask_b32_e32 v17, v50, v25, vcc
	v_fma_f32 v18, v17, v18, v17
	v_cmp_class_f32_e64 vcc, v17, s79
	v_cndmask_b32_e32 v17, v18, v17, vcc
	v_trunc_f32_e32 v18, v12
	v_cmp_eq_f32_e32 vcc, v18, v12
	v_mul_f32_e32 v12, 0.5, v12
	v_trunc_f32_e32 v18, v12
	v_cmp_neq_f32_e64 s[2:3], v18, v12
	s_and_b64 s[2:3], vcc, s[2:3]
	v_cndmask_b32_e64 v12, 1.0, v11, s[2:3]
	v_bfi_b32 v12, s64, v17, v12
	v_cndmask_b32_e32 v17, v27, v12, vcc
	v_cmp_eq_f32_e32 vcc, 0, v11
	v_cndmask_b32_e64 v12, v12, v17, s[4:5]
	v_cmp_class_f32_e64 s[4:5], v11, s79
	v_cndmask_b32_e64 v17, v50, 0, vcc
	v_cndmask_b32_e64 v18, 0, v11, s[2:3]
	s_or_b64 s[4:5], vcc, s[4:5]
	v_bfi_b32 v17, s64, v17, v18
	v_cndmask_b32_e64 v12, v12, v17, s[4:5]
	v_cmp_o_f32_e32 vcc, v11, v11
	v_cndmask_b32_e32 v11, v27, v12, vcc
	v_add_f32_e32 v12, v16, v11
	v_sub_f32_e32 v11, v16, v11
	v_mul_f32_e32 v12, v20, v12
	v_mul_f32_e32 v11, v20, v11
	buffer_store_dword v12, off, s[88:91], 0 offset:48 ; 4-byte Folded Spill
	buffer_store_dword v11, off, s[88:91], 0 offset:52 ; 4-byte Folded Spill
	buffer_load_dword v11, off, s[88:91], 0 offset:156 ; 4-byte Folded Reload
	s_nop 0
	buffer_load_dword v12, off, s[88:91], 0 offset:160 ; 4-byte Folded Reload
	buffer_load_dword v16, off, s[88:91], 0 offset:164 ; 4-byte Folded Reload
	v_mov_b32_e32 v17, 0x3c0881c4
	s_waitcnt vmcnt(2)
	v_cndmask_b32_e64 v11, v11, v49, s[30:31]
	s_waitcnt vmcnt(0)
	v_cndmask_b32_e64 v12, v12, v16, s[30:31]
	v_mul_f32_e32 v16, v11, v11
	v_fmac_f32_e32 v17, 0xb94c1982, v16
	v_fma_f32 v17, v16, v17, v1
	v_mul_f32_e32 v17, v16, v17
	v_fmac_f32_e32 v11, v11, v17
	v_mov_b32_e32 v17, 0xbab64f3b
	v_fmac_f32_e32 v17, 0x37d75334, v16
	v_fma_f32 v17, v16, v17, v58
	v_fma_f32 v17, v16, v17, v57
	v_fma_f32 v16, v16, v17, 1.0
	v_and_b32_e32 v17, 1, v12
	v_cmp_eq_u32_e32 vcc, 0, v17
	v_cndmask_b32_e64 v17, -v11, v16, vcc
	v_cndmask_b32_e32 v11, v16, v11, vcc
	v_lshlrev_b32_e32 v12, 30, v12
	v_xor_b32_e32 v11, v20, v11
	v_and_b32_e32 v16, 0x7fffffff, v20
	v_and_b32_e32 v12, 0x80000000, v12
	v_xor_b32_e32 v11, v11, v16
	v_xor_b32_e32 v11, v11, v12
	v_cndmask_b32_e64 v11, v27, v11, s[36:37]
	v_xor_b32_e32 v17, v12, v17
	v_mul_f32_e32 v12, v11, v36
	buffer_store_dword v12, off, s[88:91], 0 offset:108 ; 4-byte Folded Spill
	v_div_scale_f32 v12, s[2:3], v20, v20, v34
	v_cndmask_b32_e64 v17, v27, v17, s[36:37]
	v_add_f32_e32 v11, v11, v36
	v_mul_f32_e32 v18, v17, v34
	v_mul_f32_e32 v11, v20, v11
	buffer_store_dword v18, off, s[88:91], 0 offset:104 ; 4-byte Folded Spill
	v_rcp_f32_e32 v16, v12
	v_fma_f32 v21, -v12, v16, 1.0
	v_fmac_f32_e32 v16, v21, v16
	v_div_scale_f32 v21, vcc, v34, v20, v34
	v_mul_f32_e32 v25, v21, v16
	v_fma_f32 v28, -v12, v25, v21
	v_fmac_f32_e32 v25, v28, v16
	v_fma_f32 v12, -v12, v25, v21
	v_div_fmas_f32 v12, v12, v16, v25
	v_div_fixup_f32 v12, v12, v20, v34
	buffer_store_dword v12, off, s[88:91], 0 offset:56 ; 4-byte Folded Spill
	buffer_store_dword v36, off, s[88:91], 0 offset:4 ; 4-byte Folded Spill
	;; [unrolled: 1-line block ×4, first 2 shown]
	v_sub_f32_e32 v11, v34, v17
	v_mul_f32_e32 v11, v20, v11
	buffer_store_dword v11, off, s[88:91], 0 offset:116 ; 4-byte Folded Spill
	buffer_load_dword v11, off, s[88:91], 0 offset:176 ; 4-byte Folded Reload
	s_nop 0
	buffer_load_dword v12, off, s[88:91], 0 offset:180 ; 4-byte Folded Reload
	buffer_load_dword v16, off, s[88:91], 0 offset:184 ; 4-byte Folded Reload
	v_mov_b32_e32 v17, 0x3c0881c4
	buffer_store_dword v30, off, s[88:91], 0 offset:36 ; 4-byte Folded Spill
	s_waitcnt vmcnt(3)
	v_cndmask_b32_e64 v11, v11, v48, s[38:39]
	s_waitcnt vmcnt(1)
	v_cndmask_b32_e64 v12, v12, v16, s[38:39]
	v_mul_f32_e32 v16, v11, v11
	v_fmac_f32_e32 v17, 0xb94c1982, v16
	v_fma_f32 v17, v16, v17, v1
	v_mul_f32_e32 v17, v16, v17
	v_fmac_f32_e32 v11, v11, v17
	v_mov_b32_e32 v17, 0xbab64f3b
	v_fmac_f32_e32 v17, 0x37d75334, v16
	v_fma_f32 v17, v16, v17, v58
	v_fma_f32 v17, v16, v17, v57
	v_fma_f32 v16, v16, v17, 1.0
	v_and_b32_e32 v17, 1, v12
	v_cmp_eq_u32_e32 vcc, 0, v17
	v_cndmask_b32_e32 v17, v16, v11, vcc
	v_lshlrev_b32_e32 v12, 30, v12
	v_xor_b32_e32 v17, v55, v17
	v_and_b32_e32 v12, 0x80000000, v12
	v_xor_b32_e32 v17, v17, v61
	v_xor_b32_e32 v17, v17, v12
	v_cndmask_b32_e64 v11, -v11, v16, vcc
	v_cndmask_b32_e64 v17, v27, v17, s[40:41]
	v_xor_b32_e32 v11, v12, v11
	v_mul_f32_e32 v1, v30, v17
	v_cndmask_b32_e64 v11, v27, v11, s[40:41]
	buffer_store_dword v1, off, s[88:91], 0 offset:120 ; 4-byte Folded Spill
	v_mul_f32_e32 v1, v30, v11
	buffer_store_dword v1, off, s[88:91], 0 offset:124 ; 4-byte Folded Spill
	buffer_load_dword v1, off, s[88:91], 0 offset:188 ; 4-byte Folded Reload
	v_mov_b32_e32 v12, 0x3c0881c4
	v_mov_b32_e32 v61, 0xbe2aaa9d
	s_waitcnt vmcnt(0)
	v_cndmask_b32_e64 v0, v1, v0, s[42:43]
	buffer_load_dword v1, off, s[88:91], 0 offset:192 ; 4-byte Folded Reload
	buffer_load_dword v11, off, s[88:91], 0 offset:204 ; 4-byte Folded Reload
	s_waitcnt vmcnt(0)
	v_cndmask_b32_e64 v1, v1, v11, s[42:43]
	v_mul_f32_e32 v11, v0, v0
	v_fmac_f32_e32 v12, 0xb94c1982, v11
	v_fma_f32 v12, v11, v12, v61
	v_mul_f32_e32 v12, v11, v12
	v_fmac_f32_e32 v0, v0, v12
	v_mov_b32_e32 v12, 0xbab64f3b
	v_fmac_f32_e32 v12, 0x37d75334, v11
	v_fma_f32 v12, v11, v12, v58
	v_fma_f32 v12, v11, v12, v57
	v_fma_f32 v11, v11, v12, 1.0
	v_and_b32_e32 v12, 1, v1
	v_cmp_eq_u32_e32 vcc, 0, v12
	v_lshlrev_b32_e32 v1, 30, v1
	v_cndmask_b32_e32 v12, v11, v0, vcc
	v_and_b32_e32 v1, 0x80000000, v1
	v_cndmask_b32_e64 v0, -v0, v11, vcc
	v_xor_b32_e32 v0, v1, v0
	v_cndmask_b32_e64 v0, v27, v0, s[46:47]
	v_mul_f32_e64 v0, v0, -v20
	buffer_store_dword v0, off, s[88:91], 0 offset:164 ; 4-byte Folded Spill
	v_mul_f32_e32 v0, v20, v7
	buffer_store_dword v0, off, s[88:91], 0 offset:128 ; 4-byte Folded Spill
	v_cndmask_b32_e64 v0, -v10, v13, s[0:1]
	v_xor_b32_e32 v0, v15, v0
	v_cndmask_b32_e64 v0, v27, v0, s[28:29]
	v_xor_b32_e32 v12, v40, v12
	v_mul_f32_e32 v0, v20, v0
	v_xor_b32_e32 v12, v12, v38
	buffer_store_dword v0, off, s[88:91], 0 offset:132 ; 4-byte Folded Spill
	v_cndmask_b32_e64 v0, v14, v42, s[50:51]
	v_xor_b32_e32 v12, v12, v1
	v_cndmask_b32_e64 v1, v5, v4, s[50:51]
	v_mul_f32_e32 v4, v0, v0
	v_mov_b32_e32 v5, 0x3c0881c4
	v_fmac_f32_e32 v5, 0xb94c1982, v4
	v_fma_f32 v5, v4, v5, v61
	v_mul_f32_e32 v5, v4, v5
	v_fmac_f32_e32 v0, v0, v5
	v_mov_b32_e32 v5, 0xbab64f3b
	v_fmac_f32_e32 v5, 0x37d75334, v4
	v_fma_f32 v5, v4, v5, v58
	v_fma_f32 v5, v4, v5, v57
	v_fma_f32 v4, v4, v5, 1.0
	v_and_b32_e32 v5, 1, v1
	v_lshlrev_b32_e32 v1, 30, v1
	v_cmp_eq_u32_e32 vcc, 0, v5
	v_and_b32_e32 v1, 0x80000000, v1
	v_cndmask_b32_e32 v5, v4, v0, vcc
	v_or_b32_e32 v2, v1, v2
	v_cndmask_b32_e64 v0, -v0, v4, vcc
	v_xor_b32_e32 v2, v2, v3
	v_xor_b32_e32 v0, v1, v0
	v_xor_b32_e32 v2, v2, v5
	v_cndmask_b32_e64 v0, v27, v0, s[52:53]
	v_cndmask_b32_e64 v12, v27, v12, s[46:47]
	;; [unrolled: 1-line block ×3, first 2 shown]
	v_mul_f32_e32 v1, v19, v0
	v_mul_f32_e32 v12, v20, v12
	v_fma_f32 v1, v51, v2, -v1
	buffer_store_dword v12, off, s[88:91], 0 offset:160 ; 4-byte Folded Spill
	buffer_store_dword v1, off, s[88:91], 0 offset:60 ; 4-byte Folded Spill
	v_mul_f32_e32 v32, v19, v2
	v_fmac_f32_e32 v32, v51, v0
	buffer_load_dword v0, off, s[88:91], 0 offset:72 ; 4-byte Folded Reload
	buffer_load_dword v1, off, s[88:91], 0 offset:76 ; 4-byte Folded Reload
	;; [unrolled: 1-line block ×6, first 2 shown]
	s_waitcnt vmcnt(3)
	v_mov_b32_e32 v34, v2
	v_mul_f32_e32 v0, 0x40490fdb, v34
	v_mov_b32_e32 v33, v1
	s_waitcnt vmcnt(2)
	v_mul_f32_e32 v3, v34, v0
	s_waitcnt vmcnt(0)
	v_add_f32_e32 v2, v60, v54
	v_cmp_eq_f32_e64 vcc, |v2|, |v3|
	v_bfi_b32 v0, s64, 0, v2
	v_cndmask_b32_e32 v0, v2, v0, vcc
	buffer_store_dword v0, off, s[88:91], 0 offset:172 ; 4-byte Folded Spill
	v_cvt_f64_f32_e64 v[0:1], |v2|
	v_fma_f32 v28, 0.5, v3, v54
	v_cmp_gt_f32_e64 s[36:37], |v2|, |v3|
	v_cmp_class_f32_e64 s[4:5], v2, s77
	v_frexp_exp_i32_f64_e32 v4, v[0:1]
	v_frexp_mant_f32_e64 v0, |v2|
	v_ldexp_f32 v0, v0, 12
	buffer_store_dword v0, off, s[88:91], 0 offset:192 ; 4-byte Folded Spill
	v_cvt_f64_f32_e64 v[0:1], |v3|
	v_cmp_o_f32_e32 vcc, v3, v3
	s_and_b64 s[4:5], vcc, s[4:5]
	v_fmac_f32_e32 v54, -0.5, v3
	v_frexp_exp_i32_f64_e32 v0, v[0:1]
	v_cmp_eq_f32_e64 s[2:3], 0, v3
	v_cmp_lt_f32_e64 s[18:19], |v28|, s33
	v_cmp_lt_f32_e64 s[22:23], |v54|, s33
	v_add_u32_e32 v1, -1, v0
	v_sub_u32_e32 v10, v4, v0
	v_and_b32_e32 v0, 0x80000000, v2
	buffer_store_dword v0, off, s[88:91], 0 offset:200 ; 4-byte Folded Spill
	v_mul_f32_e32 v0, 0.5, v3
	v_and_b32_e32 v2, 0x7fffffff, v28
	buffer_store_dword v0, off, s[88:91], 0 offset:176 ; 4-byte Folded Spill
	v_lshrrev_b32_e32 v0, 23, v2
	v_add_u32_e32 v0, 0xffffff88, v0
	buffer_store_dword v1, off, s[88:91], 0 offset:196 ; 4-byte Folded Spill
	v_frexp_mant_f32_e64 v1, |v3|
	v_cmp_lt_u32_e32 vcc, 63, v0
	v_ldexp_f32 v18, v1, 1
	v_cndmask_b32_e32 v1, 0, v52, vcc
	v_add_u32_e32 v0, v1, v0
	v_cmp_lt_u32_e64 s[6:7], 31, v0
	v_cndmask_b32_e64 v1, 0, v22, s[6:7]
	v_add_u32_e32 v0, v1, v0
	v_cmp_lt_u32_e64 s[8:9], 31, v0
	v_cndmask_b32_e64 v1, 0, v22, s[8:9]
	v_add_u32_e32 v0, v1, v0
	v_and_b32_e32 v1, 0x7fffff, v2
	v_or_b32_e32 v14, 0x800000, v1
	v_mad_u64_u32 v[15:16], s[12:13], v14, s67, 0
	v_cmp_eq_u32_e64 s[10:11], 0, v0
	v_sub_u32_e32 v0, 32, v0
	v_mov_b32_e32 v7, v16
	v_mad_u64_u32 v[1:2], s[12:13], v14, s68, v[7:8]
	v_and_b32_e32 v3, 0x7fffffff, v54
	v_rcp_f32_e32 v30, v18
	v_mov_b32_e32 v7, v2
	v_mad_u64_u32 v[16:17], s[12:13], v14, s69, v[7:8]
	v_cmp_lt_i32_e64 s[0:1], 12, v10
	v_mov_b32_e32 v7, v17
	v_mad_u64_u32 v[11:12], s[12:13], v14, s70, v[7:8]
	v_cndmask_b32_e32 v15, v16, v15, vcc
	v_mov_b32_e32 v7, v12
	v_mad_u64_u32 v[4:5], s[12:13], v14, s71, v[7:8]
	v_cndmask_b32_e32 v1, v11, v1, vcc
	v_mov_b32_e32 v7, v5
	v_mad_u64_u32 v[12:13], s[12:13], v14, s72, v[7:8]
	v_mov_b32_e32 v7, v13
	v_mad_u64_u32 v[13:14], s[12:13], v14, s73, v[7:8]
	v_cndmask_b32_e32 v2, v12, v11, vcc
	v_cndmask_b32_e32 v5, v13, v4, vcc
	;; [unrolled: 1-line block ×3, first 2 shown]
	v_cndmask_b32_e64 v7, v5, v2, s[6:7]
	v_cndmask_b32_e64 v5, v12, v5, s[6:7]
	v_cndmask_b32_e32 v12, v4, v16, vcc
	v_cndmask_b32_e64 v2, v2, v12, s[6:7]
	v_cndmask_b32_e64 v5, v5, v7, s[8:9]
	;; [unrolled: 1-line block ×3, first 2 shown]
	v_alignbit_b32 v4, v5, v7, v0
	v_cndmask_b32_e64 v4, v4, v5, s[10:11]
	v_cndmask_b32_e64 v5, v12, v1, s[6:7]
	;; [unrolled: 1-line block ×3, first 2 shown]
	v_alignbit_b32 v11, v7, v2, v0
	v_cndmask_b32_e64 v7, v11, v7, s[10:11]
	v_bfe_u32 v13, v4, 29, 1
	v_cndmask_b32_e64 v1, v1, v15, s[6:7]
	v_alignbit_b32 v11, v4, v7, 30
	v_sub_u32_e32 v14, 0, v13
	v_cndmask_b32_e64 v1, v5, v1, s[8:9]
	v_xor_b32_e32 v11, v11, v14
	v_alignbit_b32 v0, v2, v1, v0
	v_cndmask_b32_e64 v0, v0, v2, s[10:11]
	v_ffbh_u32_e32 v5, v11
	v_alignbit_b32 v2, v7, v0, 30
	v_min_u32_e32 v5, 32, v5
	v_alignbit_b32 v0, v0, v1, 30
	v_xor_b32_e32 v2, v2, v14
	v_sub_u32_e32 v7, 31, v5
	v_xor_b32_e32 v0, v0, v14
	v_alignbit_b32 v11, v11, v2, v7
	v_alignbit_b32 v0, v2, v0, v7
	;; [unrolled: 1-line block ×3, first 2 shown]
	v_ffbh_u32_e32 v2, v1
	v_min_u32_e32 v2, 32, v2
	v_lshrrev_b32_e32 v12, 29, v4
	v_not_b32_e32 v7, v2
	v_alignbit_b32 v0, v1, v0, v7
	v_lshlrev_b32_e32 v1, 31, v12
	v_or_b32_e32 v7, 0x33000000, v1
	v_add_lshl_u32 v2, v2, v5, 23
	v_lshrrev_b32_e32 v0, 9, v0
	v_sub_u32_e32 v2, v7, v2
	v_or_b32_e32 v1, 0.5, v1
	v_lshlrev_b32_e32 v5, 23, v5
	v_or_b32_e32 v0, v2, v0
	v_lshrrev_b32_e32 v2, 9, v11
	v_sub_u32_e32 v1, v1, v5
	v_or_b32_e32 v1, v2, v1
	v_mul_f32_e32 v2, 0x3fc90fda, v1
	v_fma_f32 v5, v1, s74, -v2
	v_fmac_f32_e32 v5, 0x33a22168, v1
	v_lshrrev_b32_e32 v1, 30, v4
	v_add_u32_e32 v4, v13, v1
	v_mul_f32_e64 v1, |v28|, s75
	v_fmac_f32_e32 v5, 0x3fc90fda, v0
	v_rndne_f32_e32 v1, v1
	v_add_f32_e32 v0, v2, v5
	v_fma_f32 v5, v1, s76, |v28|
	v_fmac_f32_e32 v5, 0xb3a22168, v1
	v_fmac_f32_e32 v5, 0xa7c234c4, v1
	v_cvt_i32_f32_e32 v42, v1
	v_lshrrev_b32_e32 v1, 23, v3
	v_add_u32_e32 v1, 0xffffff88, v1
	v_cmp_lt_u32_e32 vcc, 63, v1
	v_cndmask_b32_e32 v2, 0, v52, vcc
	v_add_u32_e32 v1, v2, v1
	v_cmp_lt_u32_e64 s[8:9], 31, v1
	v_cndmask_b32_e64 v2, 0, v22, s[8:9]
	v_add_u32_e32 v1, v2, v1
	v_cmp_lt_u32_e64 s[10:11], 31, v1
	v_cndmask_b32_e64 v2, 0, v22, s[10:11]
	v_add_u32_e32 v21, v2, v1
	v_and_b32_e32 v1, 0x7fffff, v3
	v_or_b32_e32 v14, 0x800000, v1
	v_mad_u64_u32 v[15:16], s[14:15], v14, s67, 0
	v_cmp_eq_u32_e64 s[12:13], 0, v21
	v_cmp_class_f32_e64 s[6:7], v28, s77
	v_mov_b32_e32 v7, v16
	v_mad_u64_u32 v[1:2], s[14:15], v14, s68, v[7:8]
	v_mov_b32_e32 v7, v2
	v_mad_u64_u32 v[16:17], s[14:15], v14, s69, v[7:8]
	;; [unrolled: 2-line block ×3, first 2 shown]
	v_cndmask_b32_e32 v15, v16, v15, vcc
	v_mov_b32_e32 v7, v3
	v_mad_u64_u32 v[11:12], s[14:15], v14, s71, v[7:8]
	v_cndmask_b32_e32 v1, v2, v1, vcc
	v_mov_b32_e32 v7, v12
	v_mad_u64_u32 v[12:13], s[14:15], v14, s72, v[7:8]
	v_mov_b32_e32 v7, v13
	v_mad_u64_u32 v[13:14], s[14:15], v14, s73, v[7:8]
	v_cndmask_b32_e32 v3, v12, v2, vcc
	v_cndmask_b32_e32 v7, v13, v11, vcc
	;; [unrolled: 1-line block ×4, first 2 shown]
	v_cndmask_b32_e64 v13, v7, v3, s[8:9]
	v_cndmask_b32_e64 v7, v12, v7, s[8:9]
	;; [unrolled: 1-line block ×5, first 2 shown]
	v_sub_u32_e32 v7, 32, v21
	v_cndmask_b32_e64 v2, v11, v1, s[8:9]
	v_alignbit_b32 v3, v12, v13, v7
	v_cndmask_b32_e64 v11, v14, v2, s[10:11]
	v_cndmask_b32_e64 v3, v3, v12, s[12:13]
	v_alignbit_b32 v12, v13, v11, v7
	v_cndmask_b32_e64 v12, v12, v13, s[12:13]
	v_bfe_u32 v17, v3, 29, 1
	v_cndmask_b32_e64 v1, v1, v15, s[8:9]
	v_alignbit_b32 v13, v3, v12, 30
	v_sub_u32_e32 v21, 0, v17
	v_cndmask_b32_e64 v1, v2, v1, s[10:11]
	v_xor_b32_e32 v13, v13, v21
	v_alignbit_b32 v2, v11, v1, v7
	v_cndmask_b32_e64 v2, v2, v11, s[12:13]
	v_ffbh_u32_e32 v11, v13
	v_alignbit_b32 v7, v12, v2, 30
	v_min_u32_e32 v11, 32, v11
	v_alignbit_b32 v1, v2, v1, 30
	v_xor_b32_e32 v7, v7, v21
	v_sub_u32_e32 v12, 31, v11
	v_xor_b32_e32 v1, v1, v21
	v_alignbit_b32 v13, v13, v7, v12
	v_alignbit_b32 v1, v7, v1, v12
	;; [unrolled: 1-line block ×3, first 2 shown]
	v_ffbh_u32_e32 v7, v2
	v_min_u32_e32 v7, 32, v7
	v_lshrrev_b32_e32 v14, 29, v3
	v_not_b32_e32 v12, v7
	v_alignbit_b32 v1, v2, v1, v12
	v_lshlrev_b32_e32 v2, 31, v14
	v_or_b32_e32 v12, 0x33000000, v2
	v_add_lshl_u32 v7, v7, v11, 23
	v_lshrrev_b32_e32 v1, 9, v1
	v_sub_u32_e32 v7, v12, v7
	v_or_b32_e32 v2, 0.5, v2
	v_lshlrev_b32_e32 v11, 23, v11
	v_or_b32_e32 v1, v7, v1
	v_lshrrev_b32_e32 v7, 9, v13
	v_sub_u32_e32 v2, v2, v11
	v_or_b32_e32 v2, v7, v2
	v_mul_f32_e32 v7, 0x3fc90fda, v2
	v_fma_f32 v11, v2, s74, -v7
	v_fmac_f32_e32 v11, 0x33a22168, v2
	v_fmac_f32_e32 v11, 0x3fc90fda, v1
	v_lshrrev_b32_e32 v1, 30, v3
	v_add_u32_e32 v43, v17, v1
	v_mul_f32_e64 v1, |v54|, s75
	v_rndne_f32_e32 v1, v1
	v_fma_f32 v45, v1, s76, |v54|
	v_fmac_f32_e32 v45, 0xb3a22168, v1
	v_fmac_f32_e32 v45, 0xa7c234c4, v1
	v_cvt_i32_f32_e32 v49, v1
	v_add_f32_e32 v1, v34, v34
	v_add_f32_e32 v39, v7, v11
	v_fma_f32 v3, v34, v34, v20
	v_mul_f32_e32 v7, v34, v1
	v_cmp_eq_f32_e64 vcc, |v3|, |v7|
	v_bfi_b32 v1, s64, 0, v3
	v_cndmask_b32_e32 v1, v3, v1, vcc
	buffer_store_dword v1, off, s[88:91], 0 offset:136 ; 4-byte Folded Spill
	v_cvt_f64_f32_e64 v[1:2], |v3|
	v_cmp_gt_f32_e64 s[38:39], |v3|, |v7|
	v_cmp_eq_f32_e64 s[12:13], 0, v7
	v_cmp_o_f32_e32 vcc, v7, v7
	v_frexp_exp_i32_f64_e32 v11, v[1:2]
	v_frexp_mant_f32_e64 v1, |v3|
	v_ldexp_f32 v1, v1, 12
	buffer_store_dword v1, off, s[88:91], 0 offset:156 ; 4-byte Folded Spill
	v_cvt_f64_f32_e64 v[1:2], |v7|
	v_cmp_class_f32_e64 s[14:15], v3, s77
	s_and_b64 s[14:15], vcc, s[14:15]
	v_mul_f32_e32 v17, v34, v34
	v_frexp_exp_i32_f64_e32 v1, v[1:2]
	v_cndmask_b32_e64 v36, v39, v45, s[22:23]
	v_cmp_class_f32_e64 s[8:9], v54, s77
	s_mov_b32 s64, s65
	v_add_u32_e32 v2, -1, v1
	v_sub_u32_e32 v12, v11, v1
	v_and_b32_e32 v1, 0x80000000, v3
	buffer_store_dword v1, off, s[88:91], 0 offset:184 ; 4-byte Folded Spill
	v_fma_f32 v1, -v34, v34, 1.0
	v_mul_f32_e32 v1, v1, v20
	buffer_store_dword v1, off, s[88:91], 0 offset:140 ; 4-byte Folded Spill
	v_cndmask_b32_e64 v1, v24, v37, s[16:17]
	buffer_store_dword v2, off, s[88:91], 0 offset:180 ; 4-byte Folded Spill
	v_frexp_mant_f32_e64 v2, |v7|
	v_mul_f32_e32 v3, v1, v1
	v_mov_b32_e32 v7, 0x3c0881c4
	v_fmac_f32_e32 v7, 0xb94c1982, v3
	v_fma_f32 v7, v3, v7, v61
	v_mul_f32_e32 v7, v3, v7
	v_fmac_f32_e32 v1, v1, v7
	v_mov_b32_e32 v7, 0xbab64f3b
	v_fmac_f32_e32 v7, 0x37d75334, v3
	v_fma_f32 v7, v3, v7, v58
	v_ldexp_f32 v44, v2, 1
	v_cndmask_b32_e64 v2, v26, v47, s[16:17]
	v_fma_f32 v7, v3, v7, v57
	v_fma_f32 v3, v3, v7, 1.0
	v_and_b32_e32 v7, 1, v2
	v_lshlrev_b32_e32 v2, 30, v2
	v_cmp_eq_u32_e32 vcc, 0, v7
	v_and_b32_e32 v2, 0x80000000, v2
	v_cndmask_b32_e32 v1, v3, v1, vcc
	v_xor_b32_e32 v2, v2, v31
	v_xor_b32_e32 v1, v2, v1
	;; [unrolled: 1-line block ×3, first 2 shown]
	v_cndmask_b32_e64 v1, v27, v1, s[20:21]
	v_fma_f32 v21, v34, v1, v51
	v_cndmask_b32_e64 v1, v9, v53, s[24:25]
	v_mul_f32_e32 v3, v1, v1
	v_mov_b32_e32 v7, 0x3c0881c4
	v_fmac_f32_e32 v7, 0xb94c1982, v3
	v_fma_f32 v7, v3, v7, v61
	v_mul_f32_e32 v7, v3, v7
	v_fmac_f32_e32 v1, v1, v7
	v_mov_b32_e32 v7, 0xbab64f3b
	v_fmac_f32_e32 v7, 0x37d75334, v3
	v_fma_f32 v7, v3, v7, v58
	v_cndmask_b32_e64 v2, v23, v46, s[24:25]
	v_fma_f32 v7, v3, v7, v57
	v_fma_f32 v3, v3, v7, 1.0
	v_and_b32_e32 v7, 1, v2
	v_lshlrev_b32_e32 v2, 30, v2
	v_cmp_eq_u32_e32 vcc, 0, v7
	v_and_b32_e32 v2, 0x80000000, v2
	v_cndmask_b32_e32 v1, v3, v1, vcc
	v_xor_b32_e32 v2, v2, v29
	v_xor_b32_e32 v1, v2, v1
	;; [unrolled: 1-line block ×3, first 2 shown]
	v_cndmask_b32_e64 v1, v27, v1, s[34:35]
	v_fma_f32 v46, v60, v1, v19
	v_div_scale_f32 v1, s[16:17], v17, v17, v19
	v_mov_b32_e32 v41, 0xbf000004
	v_rcp_f32_e32 v40, v44
	v_cmp_lt_i32_e64 s[10:11], 12, v12
	v_rcp_f32_e32 v2, v1
	v_fma_f32 v3, -v1, v2, 1.0
	v_fmac_f32_e32 v2, v3, v2
	v_div_scale_f32 v3, vcc, v19, v17, v19
	v_mul_f32_e32 v6, v3, v2
	v_fma_f32 v7, -v1, v6, v3
	v_fmac_f32_e32 v6, v7, v2
	v_fma_f32 v1, -v1, v6, v3
	v_div_fmas_f32 v1, v1, v2, v6
	v_div_fixup_f32 v23, v1, v17, v19
	v_and_b32_e32 v9, 0x7fffffff, v23
	v_lshrrev_b32_e32 v1, 23, v9
	v_add_u32_e32 v1, 0xffffff88, v1
	v_cmp_lt_u32_e64 s[26:27], 63, v1
	v_cndmask_b32_e64 v2, 0, v52, s[26:27]
	v_add_u32_e32 v1, v2, v1
	v_cmp_lt_u32_e32 vcc, 31, v1
	v_cndmask_b32_e32 v2, 0, v22, vcc
	v_add_u32_e32 v1, v2, v1
	v_cmp_lt_u32_e64 s[16:17], 31, v1
	v_cndmask_b32_e64 v2, 0, v22, s[16:17]
	v_add_u32_e32 v1, v2, v1
	v_and_b32_e32 v2, 0x7fffff, v9
	v_or_b32_e32 v11, 0x800000, v2
	v_mad_u64_u32 v[2:3], s[28:29], v11, s67, 0
	v_cmp_eq_u32_e64 s[24:25], 0, v1
	v_cmp_lt_f32_e64 s[20:21], |v23|, s33
	v_mov_b32_e32 v7, v3
	v_mad_u64_u32 v[6:7], s[28:29], v11, s68, v[7:8]
	v_mad_u64_u32 v[15:16], s[28:29], v11, s69, v[7:8]
	v_mov_b32_e32 v7, v16
	v_mad_u64_u32 v[13:14], s[28:29], v11, s70, v[7:8]
	v_cndmask_b32_e64 v2, v15, v2, s[26:27]
	v_mov_b32_e32 v7, v14
	v_mad_u64_u32 v[47:48], s[28:29], v11, s71, v[7:8]
	v_cndmask_b32_e64 v16, v13, v6, s[26:27]
	v_mov_b32_e32 v7, v48
	v_mad_u64_u32 v[24:25], s[28:29], v11, s72, v[7:8]
	v_mov_b32_e32 v7, v25
	v_mad_u64_u32 v[25:26], s[28:29], v11, s73, v[7:8]
	v_cndmask_b32_e64 v3, v24, v13, s[26:27]
	v_cndmask_b32_e64 v7, v25, v47, s[26:27]
	;; [unrolled: 1-line block ×3, first 2 shown]
	v_cndmask_b32_e32 v11, v7, v3, vcc
	v_cndmask_b32_e32 v7, v14, v7, vcc
	v_cndmask_b32_e64 v14, v47, v15, s[26:27]
	v_cndmask_b32_e32 v24, v3, v14, vcc
	v_cndmask_b32_e64 v7, v7, v11, s[16:17]
	v_cndmask_b32_e64 v25, v11, v24, s[16:17]
	v_sub_u32_e32 v11, 32, v1
	v_cndmask_b32_e32 v26, v14, v16, vcc
	v_alignbit_b32 v1, v7, v25, v11
	v_cndmask_b32_e64 v14, v24, v26, s[16:17]
	v_cndmask_b32_e64 v3, v1, v7, s[24:25]
	v_alignbit_b32 v1, v25, v14, v11
	v_cndmask_b32_e64 v29, v1, v25, s[24:25]
	v_bfe_u32 v6, v3, 29, 1
	v_alignbit_b32 v1, v3, v29, 30
	v_sub_u32_e32 v13, 0, v6
	v_xor_b32_e32 v31, v1, v13
	v_cndmask_b32_e32 v1, v16, v2, vcc
	v_cndmask_b32_e64 v1, v26, v1, s[16:17]
	v_alignbit_b32 v2, v14, v1, v11
	v_cndmask_b32_e64 v14, v2, v14, s[24:25]
	v_alignbit_b32 v2, v29, v14, 30
	v_xor_b32_e32 v15, v2, v13
	v_ffbh_u32_e32 v2, v31
	v_min_u32_e32 v2, 32, v2
	v_alignbit_b32 v1, v14, v1, 30
	v_sub_u32_e32 v16, 31, v2
	v_xor_b32_e32 v1, v1, v13
	v_alignbit_b32 v11, v31, v15, v16
	v_alignbit_b32 v1, v15, v1, v16
	;; [unrolled: 1-line block ×3, first 2 shown]
	v_ffbh_u32_e32 v14, v13
	v_min_u32_e32 v14, 32, v14
	v_not_b32_e32 v15, v14
	v_lshrrev_b32_e32 v7, 29, v3
	v_alignbit_b32 v1, v13, v1, v15
	v_lshrrev_b32_e32 v13, 9, v1
	v_lshlrev_b32_e32 v1, 31, v7
	v_or_b32_e32 v7, 0x33000000, v1
	v_add_lshl_u32 v14, v14, v2, 23
	v_or_b32_e32 v1, 0.5, v1
	v_lshlrev_b32_e32 v2, 23, v2
	v_lshrrev_b32_e32 v11, 9, v11
	v_sub_u32_e32 v1, v1, v2
	v_or_b32_e32 v1, v11, v1
	v_mul_f32_e32 v2, 0x3fc90fda, v1
	v_fma_f32 v11, v1, s74, -v2
	v_fmac_f32_e32 v11, 0x33a22168, v1
	v_lshrrev_b32_e32 v1, 30, v3
	v_add_u32_e32 v37, v6, v1
	v_mul_f32_e64 v1, |v23|, s75
	v_rndne_f32_e32 v1, v1
	v_sub_u32_e32 v7, v7, v14
	v_fma_f32 v53, v1, s76, |v23|
	v_or_b32_e32 v7, v7, v13
	v_fmac_f32_e32 v53, 0xb3a22168, v1
	v_fmac_f32_e32 v11, 0x3fc90fda, v7
	;; [unrolled: 1-line block ×3, first 2 shown]
	v_cvt_i32_f32_e32 v55, v1
	v_mul_f32_e32 v1, v60, v60
	v_add_f32_e32 v50, v2, v11
	v_div_scale_f32 v2, s[16:17], v1, v1, v51
	v_cmp_class_f32_e64 s[24:25], v23, s77
	v_rcp_f32_e32 v3, v2
	v_fma_f32 v6, -v2, v3, 1.0
	v_fmac_f32_e32 v3, v6, v3
	v_div_scale_f32 v6, vcc, v51, v1, v51
	v_mul_f32_e32 v7, v6, v3
	v_fma_f32 v11, -v2, v7, v6
	v_fmac_f32_e32 v7, v11, v3
	v_fma_f32 v2, -v2, v7, v6
	v_div_fmas_f32 v2, v2, v3, v7
	v_div_fixup_f32 v11, v2, v1, v51
	v_and_b32_e32 v6, 0x7fffffff, v11
	v_lshrrev_b32_e32 v1, 23, v6
	v_add_u32_e32 v1, 0xffffff88, v1
	v_cmp_lt_u32_e64 s[16:17], 63, v1
	v_cndmask_b32_e64 v2, 0, v52, s[16:17]
	v_add_u32_e32 v1, v2, v1
	v_cmp_lt_u32_e64 s[26:27], 31, v1
	v_cndmask_b32_e64 v2, 0, v22, s[26:27]
	;; [unrolled: 3-line block ×3, first 2 shown]
	v_add_u32_e32 v29, v2, v1
	v_and_b32_e32 v1, 0x7fffff, v6
	v_or_b32_e32 v26, 0x800000, v1
	v_mad_u64_u32 v[1:2], s[34:35], v26, s67, 0
	v_cmp_eq_u32_e64 s[30:31], 0, v29
	v_cmp_lt_f32_e64 vcc, |v11|, s33
	v_mov_b32_e32 v7, v2
	v_mad_u64_u32 v[2:3], s[34:35], v26, s68, v[7:8]
	v_not_b32_e32 v22, 31
	v_mov_b32_e32 v7, v3
	v_mad_u64_u32 v[13:14], s[34:35], v26, s69, v[7:8]
	v_mov_b32_e32 v7, v14
	v_mad_u64_u32 v[14:15], s[34:35], v26, s70, v[7:8]
	v_cndmask_b32_e64 v1, v13, v1, s[16:17]
	v_mov_b32_e32 v7, v15
	v_mad_u64_u32 v[15:16], s[34:35], v26, s71, v[7:8]
	v_cndmask_b32_e64 v2, v14, v2, s[16:17]
	v_cndmask_b32_e64 v1, v2, v1, s[26:27]
	v_mov_b32_e32 v7, v16
	v_mad_u64_u32 v[24:25], s[34:35], v26, s72, v[7:8]
	v_mov_b32_e32 v7, v25
	v_mad_u64_u32 v[25:26], s[34:35], v26, s73, v[7:8]
	v_cndmask_b32_e64 v3, v24, v14, s[16:17]
	v_cndmask_b32_e64 v7, v25, v15, s[16:17]
	v_cndmask_b32_e64 v24, v26, v24, s[16:17]
	v_cndmask_b32_e64 v15, v15, v13, s[16:17]
	v_cndmask_b32_e64 v16, v7, v3, s[26:27]
	v_cndmask_b32_e64 v7, v24, v7, s[26:27]
	v_cndmask_b32_e64 v3, v3, v15, s[26:27]
	v_cndmask_b32_e64 v7, v7, v16, s[28:29]
	v_cndmask_b32_e64 v16, v16, v3, s[28:29]
	v_sub_u32_e32 v24, 32, v29
	v_cndmask_b32_e64 v14, v15, v2, s[26:27]
	v_alignbit_b32 v25, v7, v16, v24
	v_cndmask_b32_e64 v3, v3, v14, s[28:29]
	v_cndmask_b32_e64 v7, v25, v7, s[30:31]
	v_alignbit_b32 v15, v16, v3, v24
	v_cndmask_b32_e64 v15, v15, v16, s[30:31]
	v_bfe_u32 v26, v7, 29, 1
	v_alignbit_b32 v16, v7, v15, 30
	v_sub_u32_e32 v29, 0, v26
	v_cndmask_b32_e64 v1, v14, v1, s[28:29]
	v_xor_b32_e32 v16, v16, v29
	v_alignbit_b32 v2, v3, v1, v24
	v_cndmask_b32_e64 v2, v2, v3, s[30:31]
	v_ffbh_u32_e32 v13, v16
	v_alignbit_b32 v3, v15, v2, 30
	v_min_u32_e32 v13, 32, v13
	v_alignbit_b32 v1, v2, v1, 30
	v_xor_b32_e32 v3, v3, v29
	v_sub_u32_e32 v14, 31, v13
	v_xor_b32_e32 v1, v1, v29
	v_alignbit_b32 v15, v16, v3, v14
	v_alignbit_b32 v1, v3, v1, v14
	;; [unrolled: 1-line block ×3, first 2 shown]
	v_ffbh_u32_e32 v3, v2
	v_min_u32_e32 v3, 32, v3
	v_lshrrev_b32_e32 v25, 29, v7
	v_not_b32_e32 v14, v3
	v_alignbit_b32 v1, v2, v1, v14
	v_lshlrev_b32_e32 v2, 31, v25
	v_or_b32_e32 v14, 0x33000000, v2
	v_add_lshl_u32 v3, v3, v13, 23
	v_lshrrev_b32_e32 v1, 9, v1
	v_sub_u32_e32 v3, v14, v3
	v_or_b32_e32 v2, 0.5, v2
	v_lshlrev_b32_e32 v13, 23, v13
	v_or_b32_e32 v1, v3, v1
	v_lshrrev_b32_e32 v3, 9, v15
	v_sub_u32_e32 v2, v2, v13
	v_or_b32_e32 v2, v3, v2
	v_mul_f32_e32 v3, 0x3fc90fda, v2
	v_fma_f32 v13, v2, s74, -v3
	v_fmac_f32_e32 v13, 0x33a22168, v2
	v_fmac_f32_e32 v13, 0x3fc90fda, v1
	v_lshrrev_b32_e32 v1, 30, v7
	v_add_u32_e32 v7, v26, v1
	v_mul_f32_e64 v1, |v11|, s75
	v_rndne_f32_e32 v1, v1
	v_fma_f32 v26, v1, s76, |v11|
	v_fmac_f32_e32 v26, 0xb3a22168, v1
	v_cndmask_b32_e64 v2, v0, v5, s[18:19]
	v_add_f32_e32 v13, v3, v13
	v_fmac_f32_e32 v26, 0xa7c234c4, v1
	v_cvt_i32_f32_e32 v14, v1
	v_mul_f32_e32 v1, v2, v2
	v_mov_b32_e32 v3, 0x3c0881c4
	v_fmac_f32_e32 v3, 0xb94c1982, v1
	v_fma_f32 v3, v1, v3, v61
	v_mul_f32_e32 v3, v1, v3
	v_fmac_f32_e32 v2, v2, v3
	v_mov_b32_e32 v3, 0xbab64f3b
	v_fmac_f32_e32 v3, 0x37d75334, v1
	v_cndmask_b32_e64 v0, v4, v42, s[18:19]
	v_fma_f32 v3, v1, v3, v58
	v_fma_f32 v3, v1, v3, v57
	v_and_b32_e32 v5, 1, v0
	v_fma_f32 v3, v1, v3, 1.0
	v_cmp_eq_u32_e64 s[18:19], 0, v5
	v_lshlrev_b32_e32 v0, 30, v0
	v_cndmask_b32_e64 v1, -v2, v3, s[18:19]
	v_and_b32_e32 v15, 0x80000000, v0
	v_xor_b32_e32 v0, v15, v1
	v_mul_f32_e32 v1, v36, v36
	v_mov_b32_e32 v4, 0x3c0881c4
	v_fmac_f32_e32 v4, 0xb94c1982, v1
	v_fma_f32 v4, v1, v4, v61
	v_mul_f32_e32 v4, v1, v4
	v_fmac_f32_e32 v36, v36, v4
	v_mov_b32_e32 v4, 0xbab64f3b
	v_cndmask_b32_e64 v0, v27, v0, s[6:7]
	v_fmac_f32_e32 v4, 0x37d75334, v1
	buffer_store_dword v0, off, s[88:91], 0 offset:188 ; 4-byte Folded Spill
	v_cndmask_b32_e64 v0, v43, v49, s[22:23]
	v_fma_f32 v4, v1, v4, v58
	v_fma_f32 v4, v1, v4, v57
	v_and_b32_e32 v29, 1, v0
	v_fma_f32 v31, v1, v4, 1.0
	v_cmp_eq_u32_e64 s[18:19], 0, v29
	v_lshlrev_b32_e32 v0, 30, v0
	v_cndmask_b32_e64 v1, -v36, v31, s[18:19]
	v_and_b32_e32 v4, 0x80000000, v0
	v_xor_b32_e32 v0, v4, v1
	v_cndmask_b32_e64 v16, v27, v0, s[8:9]
	v_cndmask_b32_e64 v0, v50, v53, s[20:21]
	v_mul_f32_e32 v24, v0, v0
	v_mov_b32_e32 v25, 0x3c0881c4
	v_fmac_f32_e32 v25, 0xb94c1982, v24
	v_fma_f32 v25, v24, v25, v61
	v_mul_f32_e32 v25, v24, v25
	v_fmac_f32_e32 v0, v0, v25
	v_mov_b32_e32 v25, 0xbab64f3b
	v_fmac_f32_e32 v25, 0x37d75334, v24
	v_fma_f32 v25, v24, v25, v58
	v_fma_f32 v25, v24, v25, v57
	buffer_load_dword v57, off, s[88:91], 0 offset:96 ; 4-byte Folded Reload
	v_cndmask_b32_e64 v1, v37, v55, s[20:21]
	v_fma_f32 v24, v24, v25, 1.0
	v_and_b32_e32 v25, 1, v1
	v_lshlrev_b32_e32 v1, 30, v1
	v_cmp_eq_u32_e64 s[18:19], 0, v25
	v_and_b32_e32 v1, 0x80000000, v1
	v_cndmask_b32_e64 v0, v24, v0, s[18:19]
	v_xor_b32_e32 v1, v1, v23
	v_xor_b32_e32 v0, v1, v0
	v_mov_b32_e32 v27, 0x7fc00000
	v_xor_b32_e32 v0, v0, v9
	v_cndmask_b32_e64 v0, v27, v0, s[24:25]
	v_fma_f32 v37, v33, v0, v51
	v_cndmask_b32_e32 v0, v13, v26, vcc
	v_cndmask_b32_e32 v1, v7, v14, vcc
	v_mul_f32_e32 v7, v0, v0
	v_mov_b32_e32 v9, 0x3c0881c4
	v_fmac_f32_e32 v9, 0xb94c1982, v7
	v_fma_f32 v9, v7, v9, v61
	v_mul_f32_e32 v9, v7, v9
	v_fmac_f32_e32 v0, v0, v9
	v_mov_b32_e32 v9, 0xbab64f3b
	v_fmac_f32_e32 v9, 0x37d75334, v7
	v_fma_f32 v9, v7, v9, v58
	v_fma_f32 v9, v7, v9, v41
	v_fma_f32 v7, v7, v9, 1.0
	v_and_b32_e32 v9, 1, v1
	v_lshlrev_b32_e32 v1, 30, v1
	v_cmp_eq_u32_e32 vcc, 0, v9
	v_and_b32_e32 v1, 0x80000000, v1
	v_cndmask_b32_e32 v0, v7, v0, vcc
	v_xor_b32_e32 v1, v1, v11
	v_xor_b32_e32 v0, v1, v0
	v_cmp_class_f32_e64 s[16:17], v11, s77
	v_xor_b32_e32 v0, v0, v6
	v_cndmask_b32_e64 v0, v27, v0, s[16:17]
	v_mov_b32_e32 v53, 0x3d2aabf7
	v_fma_f32 v6, v59, v0, v19
	v_mov_b32_e32 v13, 0
	v_mov_b32_e32 v11, 0
                                        ; implicit-def: $vgpr23
                                        ; implicit-def: $vgpr9
	s_branch .LBB0_28
.LBB0_21:                               ;   in Loop: Header=BB0_28 Depth=1
	s_or_b64 exec, exec, s[28:29]
	s_waitcnt vmcnt(0)
	v_mov_b32_e32 v1, v23
	v_mov_b32_e32 v7, v9
.LBB0_22:                               ;   in Loop: Header=BB0_28 Depth=1
	s_or_b64 exec, exec, s[26:27]
.LBB0_23:                               ;   in Loop: Header=BB0_28 Depth=1
	s_or_b64 exec, exec, s[20:21]
.LBB0_24:                               ;   in Loop: Header=BB0_28 Depth=1
	s_or_b64 exec, exec, s[18:19]
.LBB0_25:                               ;   in Loop: Header=BB0_28 Depth=1
	s_or_b64 exec, exec, s[16:17]
	s_waitcnt vmcnt(0)
	v_mov_b32_e32 v9, v7
	v_mov_b32_e32 v23, v1
.LBB0_26:                               ;   in Loop: Header=BB0_28 Depth=1
	s_or_b64 exec, exec, s[24:25]
	s_waitcnt vmcnt(0)
	v_fmac_f32_e32 v11, v14, v9
	v_fmac_f32_e32 v13, v14, v23
.LBB0_27:                               ;   in Loop: Header=BB0_28 Depth=1
	s_or_b64 exec, exec, s[22:23]
	s_add_i32 s64, s64, 1
	s_cmp_lg_u32 s64, 5
	s_cbranch_scc0 .LBB0_246
.LBB0_28:                               ; =>This Loop Header: Depth=1
                                        ;     Child Loop BB0_148 Depth 2
                                        ;     Child Loop BB0_161 Depth 2
	s_lshl_b64 s[16:17], s[64:65], 3
	v_mov_b32_e32 v1, s17
	v_add_co_u32_e32 v0, vcc, s16, v35
	v_addc_co_u32_e32 v1, vcc, v56, v1, vcc
	global_load_dword v14, v[0:1], off offset:4
	s_waitcnt vmcnt(0)
	v_cmp_nlt_f32_e64 s[16:17], |v14|, s48
	s_and_saveexec_b64 s[22:23], s[16:17]
	s_cbranch_execz .LBB0_27
; %bb.29:                               ;   in Loop: Header=BB0_28 Depth=1
	global_load_dword v0, v[0:1], off
	s_waitcnt vmcnt(0)
	v_cmp_lt_i32_e32 vcc, 17, v0
	s_and_saveexec_b64 s[16:17], vcc
	s_xor_b64 s[24:25], exec, s[16:17]
	s_cbranch_execz .LBB0_175
; %bb.30:                               ;   in Loop: Header=BB0_28 Depth=1
	v_cmp_lt_i32_e32 vcc, 33, v0
	s_and_saveexec_b64 s[16:17], vcc
	s_xor_b64 s[26:27], exec, s[16:17]
	s_cbranch_execz .LBB0_116
; %bb.31:                               ;   in Loop: Header=BB0_28 Depth=1
	;; [unrolled: 5-line block ×6, first 2 shown]
	v_cmp_eq_u32_e32 vcc, 48, v0
	s_and_saveexec_b64 s[18:19], vcc
	s_cbranch_execz .LBB0_37
; %bb.36:                               ;   in Loop: Header=BB0_28 Depth=1
	buffer_load_dword v23, off, s[88:91], 0 offset:268 ; 4-byte Folded Reload
	buffer_load_dword v9, off, s[88:91], 0 offset:264 ; 4-byte Folded Reload
.LBB0_37:                               ;   in Loop: Header=BB0_28 Depth=1
	s_or_b64 exec, exec, s[18:19]
.LBB0_38:                               ;   in Loop: Header=BB0_28 Depth=1
	s_andn2_saveexec_b64 s[40:41], s[16:17]
	s_cbranch_execz .LBB0_48
; %bb.39:                               ;   in Loop: Header=BB0_28 Depth=1
	global_load_dword v0, v[62:63], off
                                        ; implicit-def: $vgpr23
	s_waitcnt vmcnt(0)
	v_mul_f32_e32 v0, v20, v0
	v_mul_f32_e32 v0, v14, v0
	v_and_b32_e32 v1, 0x7fffffff, v0
	v_lshrrev_b32_e32 v7, 23, v1
	v_and_b32_e32 v9, 0x7fffff, v1
	v_cmp_nlt_f32_e64 s[42:43], |v0|, s33
	v_add_u32_e32 v39, 0xffffff88, v7
	v_or_b32_e32 v26, 0x800000, v9
                                        ; implicit-def: $vgpr9
	s_and_saveexec_b64 s[16:17], s[42:43]
	s_xor_b64 s[44:45], exec, s[16:17]
	s_cbranch_execz .LBB0_41
; %bb.40:                               ;   in Loop: Header=BB0_28 Depth=1
	v_mad_u64_u32 v[23:24], s[16:17], v26, s67, 0
	v_cmp_lt_u32_e32 vcc, 63, v39
	v_mov_b32_e32 v7, v24
	v_mad_u64_u32 v[24:25], s[16:17], v26, s68, v[7:8]
	v_mov_b32_e32 v7, v25
	v_mad_u64_u32 v[42:43], s[16:17], v26, s69, v[7:8]
	;; [unrolled: 2-line block ×3, first 2 shown]
	v_cndmask_b32_e32 v7, 0, v52, vcc
	v_add_u32_e32 v9, v7, v39
	v_mov_b32_e32 v7, v48
	v_mad_u64_u32 v[48:49], s[16:17], v26, s71, v[7:8]
	v_cmp_lt_u32_e64 s[16:17], 31, v9
	v_cndmask_b32_e64 v7, 0, v22, s[16:17]
	v_add_u32_e32 v9, v7, v9
	v_mov_b32_e32 v7, v49
	v_mad_u64_u32 v[49:50], s[18:19], v26, s72, v[7:8]
	v_cmp_lt_u32_e64 s[18:19], 31, v9
	v_cndmask_b32_e64 v7, 0, v22, s[18:19]
	v_add_u32_e32 v9, v7, v9
	v_mov_b32_e32 v7, v50
	v_mad_u64_u32 v[58:59], s[20:21], v26, s73, v[7:8]
	v_cndmask_b32_e32 v7, v48, v42, vcc
	v_cndmask_b32_e32 v25, v49, v47, vcc
	;; [unrolled: 1-line block ×4, first 2 shown]
	v_cndmask_b32_e64 v34, v25, v7, s[16:17]
	v_cndmask_b32_e64 v25, v38, v25, s[16:17]
	;; [unrolled: 1-line block ×3, first 2 shown]
	v_cndmask_b32_e32 v24, v47, v24, vcc
	v_cndmask_b32_e64 v38, v38, v25, s[18:19]
	v_cndmask_b32_e64 v25, v25, v34, s[18:19]
	v_sub_u32_e32 v43, 32, v9
	v_cndmask_b32_e64 v7, v7, v24, s[16:17]
	v_alignbit_b32 v45, v38, v25, v43
	v_cmp_eq_u32_e64 s[20:21], 0, v9
	v_cndmask_b32_e64 v34, v34, v7, s[18:19]
	v_cndmask_b32_e32 v23, v42, v23, vcc
	v_cndmask_b32_e64 v9, v45, v38, s[20:21]
	v_alignbit_b32 v38, v25, v34, v43
	v_cndmask_b32_e64 v23, v24, v23, s[16:17]
	v_cndmask_b32_e64 v25, v38, v25, s[20:21]
	v_bfe_u32 v47, v9, 29, 1
	v_cndmask_b32_e64 v7, v7, v23, s[18:19]
	v_alignbit_b32 v38, v9, v25, 30
	v_sub_u32_e32 v48, 0, v47
	v_alignbit_b32 v23, v34, v7, v43
	v_xor_b32_e32 v38, v38, v48
	v_cndmask_b32_e64 v23, v23, v34, s[20:21]
	v_alignbit_b32 v24, v25, v23, 30
	v_ffbh_u32_e32 v25, v38
	v_min_u32_e32 v25, 32, v25
	v_alignbit_b32 v7, v23, v7, 30
	v_xor_b32_e32 v24, v24, v48
	v_sub_u32_e32 v34, 31, v25
	v_xor_b32_e32 v7, v7, v48
	v_alignbit_b32 v38, v38, v24, v34
	v_alignbit_b32 v7, v24, v7, v34
	;; [unrolled: 1-line block ×3, first 2 shown]
	v_ffbh_u32_e32 v24, v23
	v_min_u32_e32 v24, 32, v24
	v_lshrrev_b32_e32 v45, 29, v9
	v_not_b32_e32 v34, v24
	v_alignbit_b32 v7, v23, v7, v34
	v_lshlrev_b32_e32 v23, 31, v45
	v_or_b32_e32 v34, 0x33000000, v23
	v_add_lshl_u32 v24, v24, v25, 23
	v_lshrrev_b32_e32 v7, 9, v7
	v_sub_u32_e32 v24, v34, v24
	v_or_b32_e32 v23, 0.5, v23
	v_lshlrev_b32_e32 v25, 23, v25
	v_or_b32_e32 v7, v24, v7
	v_lshrrev_b32_e32 v24, 9, v38
	v_sub_u32_e32 v23, v23, v25
	v_or_b32_e32 v23, v24, v23
	v_mul_f32_e32 v24, 0x3fc90fda, v23
	v_fma_f32 v25, v23, s74, -v24
	v_fmac_f32_e32 v25, 0x33a22168, v23
	v_fmac_f32_e32 v25, 0x3fc90fda, v7
	v_lshrrev_b32_e32 v7, 30, v9
	v_add_f32_e32 v23, v24, v25
	v_add_u32_e32 v9, v47, v7
.LBB0_41:                               ;   in Loop: Header=BB0_28 Depth=1
	s_or_saveexec_b64 s[16:17], s[44:45]
	v_mul_f32_e64 v7, |v0|, s75
	v_rndne_f32_e32 v45, v7
	s_xor_b64 exec, exec, s[16:17]
; %bb.42:                               ;   in Loop: Header=BB0_28 Depth=1
	v_cvt_i32_f32_e32 v9, v45
	v_fma_f32 v23, v45, s76, |v0|
	v_fmac_f32_e32 v23, 0xb3a22168, v45
	v_fmac_f32_e32 v23, 0xa7c234c4, v45
; %bb.43:                               ;   in Loop: Header=BB0_28 Depth=1
	s_or_b64 exec, exec, s[16:17]
                                        ; implicit-def: $vgpr7
                                        ; implicit-def: $vgpr43
	s_and_saveexec_b64 s[16:17], s[42:43]
	s_xor_b64 s[42:43], exec, s[16:17]
	s_cbranch_execz .LBB0_45
; %bb.44:                               ;   in Loop: Header=BB0_28 Depth=1
	v_mad_u64_u32 v[24:25], s[16:17], v26, s67, 0
	v_cmp_lt_u32_e32 vcc, 63, v39
	v_mov_b32_e32 v7, v25
	v_mad_u64_u32 v[42:43], s[16:17], v26, s68, v[7:8]
	v_mov_b32_e32 v7, v43
	v_mad_u64_u32 v[47:48], s[16:17], v26, s69, v[7:8]
	;; [unrolled: 2-line block ×3, first 2 shown]
	v_cndmask_b32_e32 v7, 0, v52, vcc
	v_add_u32_e32 v25, v7, v39
	v_mov_b32_e32 v7, v49
	v_mad_u64_u32 v[38:39], s[16:17], v26, s71, v[7:8]
	v_cmp_lt_u32_e64 s[16:17], 31, v25
	v_cndmask_b32_e64 v7, 0, v22, s[16:17]
	v_add_u32_e32 v25, v7, v25
	v_mov_b32_e32 v7, v39
	v_mad_u64_u32 v[49:50], s[18:19], v26, s72, v[7:8]
	v_cmp_lt_u32_e64 s[18:19], 31, v25
	v_cndmask_b32_e64 v7, 0, v22, s[18:19]
	v_add_u32_e32 v34, v7, v25
	v_mov_b32_e32 v7, v50
	v_mad_u64_u32 v[25:26], s[20:21], v26, s73, v[7:8]
	v_cndmask_b32_e32 v7, v38, v47, vcc
	v_cndmask_b32_e32 v39, v49, v48, vcc
	;; [unrolled: 1-line block ×4, first 2 shown]
	v_cndmask_b32_e64 v43, v39, v7, s[16:17]
	v_cndmask_b32_e64 v38, v25, v39, s[16:17]
	;; [unrolled: 1-line block ×5, first 2 shown]
	v_sub_u32_e32 v38, 32, v34
	v_cmp_eq_u32_e64 s[20:21], 0, v34
	v_cndmask_b32_e32 v34, v48, v42, vcc
	v_alignbit_b32 v39, v25, v26, v38
	v_cndmask_b32_e64 v7, v7, v34, s[16:17]
	v_cndmask_b32_e64 v25, v39, v25, s[20:21]
	;; [unrolled: 1-line block ×3, first 2 shown]
	v_alignbit_b32 v42, v26, v39, v38
	v_cndmask_b32_e32 v24, v47, v24, vcc
	v_cndmask_b32_e64 v26, v42, v26, s[20:21]
	v_bfe_u32 v45, v25, 29, 1
	v_cndmask_b32_e64 v24, v34, v24, s[16:17]
	v_alignbit_b32 v42, v25, v26, 30
	v_sub_u32_e32 v48, 0, v45
	v_cndmask_b32_e64 v7, v7, v24, s[18:19]
	v_xor_b32_e32 v42, v42, v48
	v_alignbit_b32 v24, v39, v7, v38
	v_cndmask_b32_e64 v24, v24, v39, s[20:21]
	v_ffbh_u32_e32 v34, v42
	v_alignbit_b32 v26, v26, v24, 30
	v_min_u32_e32 v34, 32, v34
	v_alignbit_b32 v7, v24, v7, 30
	v_xor_b32_e32 v26, v26, v48
	v_sub_u32_e32 v38, 31, v34
	v_xor_b32_e32 v7, v7, v48
	v_alignbit_b32 v39, v42, v26, v38
	v_alignbit_b32 v7, v26, v7, v38
	;; [unrolled: 1-line block ×3, first 2 shown]
	v_ffbh_u32_e32 v26, v24
	v_min_u32_e32 v26, 32, v26
	v_lshrrev_b32_e32 v43, 29, v25
	v_not_b32_e32 v38, v26
	v_alignbit_b32 v7, v24, v7, v38
	v_lshlrev_b32_e32 v24, 31, v43
	v_or_b32_e32 v38, 0x33000000, v24
	v_add_lshl_u32 v26, v26, v34, 23
	v_lshrrev_b32_e32 v7, 9, v7
	v_sub_u32_e32 v26, v38, v26
	v_or_b32_e32 v24, 0.5, v24
	v_lshlrev_b32_e32 v34, 23, v34
	v_or_b32_e32 v7, v26, v7
	v_lshrrev_b32_e32 v26, 9, v39
	v_sub_u32_e32 v24, v24, v34
	v_or_b32_e32 v24, v26, v24
	v_mul_f32_e32 v26, 0x3fc90fda, v24
	v_fma_f32 v34, v24, s74, -v26
	v_fmac_f32_e32 v34, 0x33a22168, v24
	v_fmac_f32_e32 v34, 0x3fc90fda, v7
	v_lshrrev_b32_e32 v7, 30, v25
	v_add_f32_e32 v43, v26, v34
	v_add_u32_e32 v7, v45, v7
                                        ; implicit-def: $vgpr45
	s_andn2_saveexec_b64 s[16:17], s[42:43]
	s_cbranch_execnz .LBB0_46
	s_branch .LBB0_47
.LBB0_45:                               ;   in Loop: Header=BB0_28 Depth=1
	s_andn2_saveexec_b64 s[16:17], s[42:43]
.LBB0_46:                               ;   in Loop: Header=BB0_28 Depth=1
	v_cvt_i32_f32_e32 v7, v45
	v_fma_f32 v43, v45, s76, |v0|
	v_fmac_f32_e32 v43, 0xb3a22168, v45
	v_fmac_f32_e32 v43, 0xa7c234c4, v45
.LBB0_47:                               ;   in Loop: Header=BB0_28 Depth=1
	s_or_b64 exec, exec, s[16:17]
	v_mul_f32_e32 v24, v0, v0
	v_cmp_gt_f32_e32 vcc, s66, v24
	v_cndmask_b32_e64 v25, 0, 32, vcc
	v_ldexp_f32 v24, v24, v25
	v_log_f32_e32 v24, v24
	v_mov_b32_e32 v25, 0x411a209b
	v_cndmask_b32_e32 v25, 0, v25, vcc
	v_mov_b32_e32 v34, 0x3d2aabf7
	v_mul_f32_e32 v26, 0x3e9a209a, v24
	v_fma_f32 v26, v24, s49, -v26
	v_fmac_f32_e32 v26, 0x3284fbcf, v24
	v_fmac_f32_e32 v26, 0x3e9a209a, v24
	v_cmp_lt_f32_e64 vcc, |v24|, s78
	v_cndmask_b32_e32 v24, v24, v26, vcc
	v_sub_f32_e32 v24, v24, v25
	v_mul_f32_e32 v25, v23, v23
	v_mov_b32_e32 v26, 0x3c0881c4
	v_fmac_f32_e32 v26, 0xb94c1982, v25
	v_fma_f32 v26, v25, v26, v61
	v_mul_f32_e32 v26, v25, v26
	v_fmac_f32_e32 v23, v23, v26
	v_mov_b32_e32 v26, 0xbab64f3b
	v_fmac_f32_e32 v26, 0x37d75334, v25
	v_fma_f32 v26, v25, v26, v34
	v_fma_f32 v26, v25, v26, v41
	v_fma_f32 v25, v25, v26, 1.0
	v_and_b32_e32 v26, 1, v9
	v_cmp_eq_u32_e32 vcc, 0, v26
	v_lshlrev_b32_e32 v9, 30, v9
	v_cndmask_b32_e64 v23, -v23, v25, vcc
	v_and_b32_e32 v9, 0x80000000, v9
	v_xor_b32_e32 v9, v9, v23
	v_cmp_class_f32_e64 vcc, v0, s77
	v_cndmask_b32_e32 v9, v27, v9, vcc
	v_add_f32_e32 v23, v24, v9
	v_mul_f32_e32 v24, v43, v43
	v_mov_b32_e32 v25, 0x3c0881c4
	v_fmac_f32_e32 v25, 0xb94c1982, v24
	v_fma_f32 v25, v24, v25, v61
	v_mul_f32_e32 v25, v24, v25
	v_fmac_f32_e32 v43, v43, v25
	v_mov_b32_e32 v25, 0xbab64f3b
	v_fmac_f32_e32 v25, 0x37d75334, v24
	v_fma_f32 v25, v24, v25, v34
	v_fma_f32 v25, v24, v25, v41
	v_fma_f32 v24, v24, v25, 1.0
	v_and_b32_e32 v25, 1, v7
	v_lshlrev_b32_e32 v7, 30, v7
	v_cmp_eq_u32_e64 s[16:17], 0, v25
	v_and_b32_e32 v7, 0x80000000, v7
	v_xor_b32_e32 v0, v1, v0
	v_cndmask_b32_e64 v24, v24, v43, s[16:17]
	v_xor_b32_e32 v0, v0, v7
	v_xor_b32_e32 v0, v0, v24
	v_mul_f32_e32 v0, 0x40490fdb, v0
	v_cndmask_b32_e32 v0, v27, v0, vcc
	v_mul_f32_e32 v9, v51, v23
	v_mov_b32_e32 v53, 0x3d2aabf7
	v_sub_f32_e32 v23, v23, v0
.LBB0_48:                               ;   in Loop: Header=BB0_28 Depth=1
	s_or_b64 exec, exec, s[40:41]
.LBB0_49:                               ;   in Loop: Header=BB0_28 Depth=1
	s_andn2_saveexec_b64 s[34:35], s[34:35]
	s_cbranch_execz .LBB0_55
; %bb.50:                               ;   in Loop: Header=BB0_28 Depth=1
	v_mul_f32_e32 v0, v20, v14
	v_cmp_nlt_f32_e64 s[16:17], |v0|, s33
                                        ; implicit-def: $vgpr1
                                        ; implicit-def: $vgpr7
	s_and_saveexec_b64 s[18:19], s[16:17]
	s_xor_b64 s[40:41], exec, s[18:19]
	s_cbranch_execz .LBB0_52
; %bb.51:                               ;   in Loop: Header=BB0_28 Depth=1
	v_and_b32_e32 v1, 0x7fffffff, v0
	v_and_b32_e32 v7, 0x7fffff, v1
	s_waitcnt vmcnt(0)
	v_or_b32_e32 v9, 0x800000, v7
	v_mad_u64_u32 v[23:24], s[16:17], v9, s67, 0
	v_lshrrev_b32_e32 v1, 23, v1
	v_add_u32_e32 v1, 0xffffff88, v1
	v_mov_b32_e32 v7, v24
	v_mad_u64_u32 v[24:25], s[16:17], v9, s68, v[7:8]
	v_cmp_lt_u32_e32 vcc, 63, v1
	v_mov_b32_e32 v7, v25
	v_mad_u64_u32 v[25:26], s[16:17], v9, s69, v[7:8]
	v_mov_b32_e32 v7, v26
	v_mad_u64_u32 v[38:39], s[16:17], v9, s70, v[7:8]
	v_cndmask_b32_e32 v23, v25, v23, vcc
	v_mov_b32_e32 v7, v39
	v_mad_u64_u32 v[42:43], s[16:17], v9, s71, v[7:8]
	v_cndmask_b32_e32 v7, 0, v52, vcc
	v_add_u32_e32 v1, v7, v1
	v_mov_b32_e32 v7, v43
	v_mad_u64_u32 v[47:48], s[16:17], v9, s72, v[7:8]
	v_cmp_lt_u32_e64 s[16:17], 31, v1
	v_cndmask_b32_e64 v7, 0, v22, s[16:17]
	v_add_u32_e32 v1, v7, v1
	v_mov_b32_e32 v7, v48
	v_mad_u64_u32 v[48:49], s[18:19], v9, s73, v[7:8]
	v_cmp_lt_u32_e64 s[18:19], 31, v1
	v_cndmask_b32_e64 v7, 0, v22, s[18:19]
	v_add_u32_e32 v1, v7, v1
	v_cndmask_b32_e32 v7, v47, v38, vcc
	v_cndmask_b32_e32 v9, v48, v42, vcc
	;; [unrolled: 1-line block ×3, first 2 shown]
	v_cndmask_b32_e64 v34, v9, v7, s[16:17]
	v_cndmask_b32_e64 v9, v26, v9, s[16:17]
	v_cndmask_b32_e32 v26, v42, v25, vcc
	v_cndmask_b32_e64 v7, v7, v26, s[16:17]
	v_cndmask_b32_e64 v9, v9, v34, s[18:19]
	;; [unrolled: 1-line block ×3, first 2 shown]
	v_sub_u32_e32 v39, 32, v1
	v_alignbit_b32 v42, v9, v34, v39
	v_cmp_eq_u32_e64 s[20:21], 0, v1
	v_cndmask_b32_e64 v1, v42, v9, s[20:21]
	v_cndmask_b32_e32 v9, v38, v24, vcc
	v_cndmask_b32_e64 v24, v26, v9, s[16:17]
	v_cndmask_b32_e64 v7, v7, v24, s[18:19]
	v_alignbit_b32 v26, v34, v7, v39
	v_cndmask_b32_e64 v26, v26, v34, s[20:21]
	v_bfe_u32 v42, v1, 29, 1
	v_cndmask_b32_e64 v9, v9, v23, s[16:17]
	v_alignbit_b32 v34, v1, v26, 30
	v_sub_u32_e32 v43, 0, v42
	v_cndmask_b32_e64 v9, v24, v9, s[18:19]
	v_xor_b32_e32 v34, v34, v43
	v_alignbit_b32 v23, v7, v9, v39
	v_cndmask_b32_e64 v7, v23, v7, s[20:21]
	v_ffbh_u32_e32 v24, v34
	v_alignbit_b32 v23, v26, v7, 30
	v_min_u32_e32 v24, 32, v24
	v_alignbit_b32 v7, v7, v9, 30
	v_xor_b32_e32 v23, v23, v43
	v_sub_u32_e32 v25, 31, v24
	v_xor_b32_e32 v7, v7, v43
	v_alignbit_b32 v26, v34, v23, v25
	v_alignbit_b32 v7, v23, v7, v25
	;; [unrolled: 1-line block ×3, first 2 shown]
	v_ffbh_u32_e32 v23, v9
	v_min_u32_e32 v23, 32, v23
	v_lshrrev_b32_e32 v38, 29, v1
	v_not_b32_e32 v25, v23
	v_alignbit_b32 v7, v9, v7, v25
	v_lshlrev_b32_e32 v9, 31, v38
	v_or_b32_e32 v25, 0x33000000, v9
	v_add_lshl_u32 v23, v23, v24, 23
	v_lshrrev_b32_e32 v7, 9, v7
	v_sub_u32_e32 v23, v25, v23
	v_or_b32_e32 v9, 0.5, v9
	v_lshlrev_b32_e32 v24, 23, v24
	v_or_b32_e32 v7, v23, v7
	v_lshrrev_b32_e32 v23, 9, v26
	v_sub_u32_e32 v9, v9, v24
	v_or_b32_e32 v9, v23, v9
	v_mul_f32_e32 v23, 0x3fc90fda, v9
	v_fma_f32 v24, v9, s74, -v23
	v_fmac_f32_e32 v24, 0x33a22168, v9
	v_fmac_f32_e32 v24, 0x3fc90fda, v7
	v_lshrrev_b32_e32 v1, 30, v1
	v_add_f32_e32 v7, v23, v24
	v_add_u32_e32 v1, v42, v1
.LBB0_52:                               ;   in Loop: Header=BB0_28 Depth=1
	s_andn2_saveexec_b64 s[16:17], s[40:41]
	s_cbranch_execz .LBB0_54
; %bb.53:                               ;   in Loop: Header=BB0_28 Depth=1
	v_mul_f32_e64 v1, |v0|, s75
	s_waitcnt vmcnt(0)
	v_rndne_f32_e32 v9, v1
	v_cvt_i32_f32_e32 v1, v9
	v_fma_f32 v7, v9, s76, |v0|
	v_fmac_f32_e32 v7, 0xb3a22168, v9
	v_fmac_f32_e32 v7, 0xa7c234c4, v9
.LBB0_54:                               ;   in Loop: Header=BB0_28 Depth=1
	s_or_b64 exec, exec, s[16:17]
	s_waitcnt vmcnt(0)
	v_mul_f32_e32 v9, v7, v7
	v_mov_b32_e32 v23, 0x3c0881c4
	v_fmac_f32_e32 v23, 0xb94c1982, v9
	v_fma_f32 v23, v9, v23, v61
	v_mul_f32_e32 v23, v9, v23
	v_fmac_f32_e32 v7, v7, v23
	v_mov_b32_e32 v23, 0xbab64f3b
	v_fmac_f32_e32 v23, 0x37d75334, v9
	v_fma_f32 v23, v9, v23, v53
	v_fma_f32 v23, v9, v23, v41
	v_fma_f32 v9, v9, v23, 1.0
	v_and_b32_e32 v23, 1, v1
	v_cmp_eq_u32_e32 vcc, 0, v23
	v_lshlrev_b32_e32 v1, 30, v1
	v_cndmask_b32_e64 v7, -v7, v9, vcc
	v_and_b32_e32 v1, 0x80000000, v1
	v_xor_b32_e32 v1, v1, v7
	v_cmp_class_f32_e64 vcc, v0, s77
	v_cndmask_b32_e32 v0, v27, v1, vcc
	v_mul_f32_e32 v0, v14, v0
	v_div_scale_f32 v1, s[16:17], v0, v0, 1.0
	v_div_scale_f32 v7, vcc, 1.0, v0, 1.0
	v_rcp_f32_e32 v9, v1
	v_fma_f32 v23, -v1, v9, 1.0
	v_fmac_f32_e32 v9, v23, v9
	v_mul_f32_e32 v23, v7, v9
	v_fma_f32 v24, -v1, v23, v7
	v_fmac_f32_e32 v23, v24, v9
	v_fma_f32 v1, -v1, v23, v7
	v_div_fmas_f32 v1, v1, v9, v23
	v_mov_b32_e32 v9, v51
	v_div_fixup_f32 v23, v1, v0, 1.0
.LBB0_55:                               ;   in Loop: Header=BB0_28 Depth=1
	s_or_b64 exec, exec, s[34:35]
                                        ; implicit-def: $vgpr0
.LBB0_56:                               ;   in Loop: Header=BB0_28 Depth=1
	s_andn2_saveexec_b64 s[30:31], s[30:31]
	s_cbranch_execz .LBB0_82
; %bb.57:                               ;   in Loop: Header=BB0_28 Depth=1
	v_cmp_lt_i32_e32 vcc, 44, v0
                                        ; implicit-def: $vgpr23
                                        ; implicit-def: $vgpr9
	s_and_saveexec_b64 s[16:17], vcc
	s_xor_b64 s[34:35], exec, s[16:17]
	s_cbranch_execz .LBB0_75
; %bb.58:                               ;   in Loop: Header=BB0_28 Depth=1
	global_load_dword v0, v[62:63], off
                                        ; implicit-def: $vgpr23
	s_waitcnt vmcnt(0)
	v_mul_f32_e32 v0, v20, v0
	v_mul_f32_e32 v0, v14, v0
	v_and_b32_e32 v1, 0x7fffffff, v0
	v_lshrrev_b32_e32 v7, 23, v1
	v_and_b32_e32 v9, 0x7fffff, v1
	v_cmp_nlt_f32_e64 s[40:41], |v0|, s33
	v_add_u32_e32 v39, 0xffffff88, v7
	v_or_b32_e32 v26, 0x800000, v9
                                        ; implicit-def: $vgpr9
	s_and_saveexec_b64 s[16:17], s[40:41]
	s_xor_b64 s[42:43], exec, s[16:17]
	s_cbranch_execz .LBB0_60
; %bb.59:                               ;   in Loop: Header=BB0_28 Depth=1
	v_mad_u64_u32 v[23:24], s[16:17], v26, s67, 0
	v_cmp_lt_u32_e32 vcc, 63, v39
	v_mov_b32_e32 v7, v24
	v_mad_u64_u32 v[24:25], s[16:17], v26, s68, v[7:8]
	v_mov_b32_e32 v7, v25
	v_mad_u64_u32 v[42:43], s[16:17], v26, s69, v[7:8]
	v_mov_b32_e32 v7, v43
	v_mad_u64_u32 v[47:48], s[16:17], v26, s70, v[7:8]
	v_cndmask_b32_e32 v7, 0, v52, vcc
	v_add_u32_e32 v9, v7, v39
	v_mov_b32_e32 v7, v48
	v_mad_u64_u32 v[48:49], s[16:17], v26, s71, v[7:8]
	v_cmp_lt_u32_e64 s[16:17], 31, v9
	v_cndmask_b32_e64 v7, 0, v22, s[16:17]
	v_add_u32_e32 v9, v7, v9
	v_mov_b32_e32 v7, v49
	v_mad_u64_u32 v[49:50], s[18:19], v26, s72, v[7:8]
	v_cmp_lt_u32_e64 s[18:19], 31, v9
	v_cndmask_b32_e64 v7, 0, v22, s[18:19]
	v_add_u32_e32 v9, v7, v9
	v_mov_b32_e32 v7, v50
	v_mad_u64_u32 v[58:59], s[20:21], v26, s73, v[7:8]
	v_cndmask_b32_e32 v7, v48, v42, vcc
	v_cndmask_b32_e32 v25, v49, v47, vcc
	;; [unrolled: 1-line block ×4, first 2 shown]
	v_cndmask_b32_e64 v34, v25, v7, s[16:17]
	v_cndmask_b32_e64 v25, v38, v25, s[16:17]
	;; [unrolled: 1-line block ×3, first 2 shown]
	v_cndmask_b32_e32 v24, v47, v24, vcc
	v_cndmask_b32_e64 v38, v38, v25, s[18:19]
	v_cndmask_b32_e64 v25, v25, v34, s[18:19]
	v_sub_u32_e32 v43, 32, v9
	v_cndmask_b32_e64 v7, v7, v24, s[16:17]
	v_alignbit_b32 v45, v38, v25, v43
	v_cmp_eq_u32_e64 s[20:21], 0, v9
	v_cndmask_b32_e64 v34, v34, v7, s[18:19]
	v_cndmask_b32_e32 v23, v42, v23, vcc
	v_cndmask_b32_e64 v9, v45, v38, s[20:21]
	v_alignbit_b32 v38, v25, v34, v43
	v_cndmask_b32_e64 v23, v24, v23, s[16:17]
	v_cndmask_b32_e64 v25, v38, v25, s[20:21]
	v_bfe_u32 v47, v9, 29, 1
	v_cndmask_b32_e64 v7, v7, v23, s[18:19]
	v_alignbit_b32 v38, v9, v25, 30
	v_sub_u32_e32 v48, 0, v47
	v_alignbit_b32 v23, v34, v7, v43
	v_xor_b32_e32 v38, v38, v48
	v_cndmask_b32_e64 v23, v23, v34, s[20:21]
	v_alignbit_b32 v24, v25, v23, 30
	v_ffbh_u32_e32 v25, v38
	v_min_u32_e32 v25, 32, v25
	v_alignbit_b32 v7, v23, v7, 30
	v_xor_b32_e32 v24, v24, v48
	v_sub_u32_e32 v34, 31, v25
	v_xor_b32_e32 v7, v7, v48
	v_alignbit_b32 v38, v38, v24, v34
	v_alignbit_b32 v7, v24, v7, v34
	;; [unrolled: 1-line block ×3, first 2 shown]
	v_ffbh_u32_e32 v24, v23
	v_min_u32_e32 v24, 32, v24
	v_lshrrev_b32_e32 v45, 29, v9
	v_not_b32_e32 v34, v24
	v_alignbit_b32 v7, v23, v7, v34
	v_lshlrev_b32_e32 v23, 31, v45
	v_or_b32_e32 v34, 0x33000000, v23
	v_add_lshl_u32 v24, v24, v25, 23
	v_lshrrev_b32_e32 v7, 9, v7
	v_sub_u32_e32 v24, v34, v24
	v_or_b32_e32 v23, 0.5, v23
	v_lshlrev_b32_e32 v25, 23, v25
	v_or_b32_e32 v7, v24, v7
	v_lshrrev_b32_e32 v24, 9, v38
	v_sub_u32_e32 v23, v23, v25
	v_or_b32_e32 v23, v24, v23
	v_mul_f32_e32 v24, 0x3fc90fda, v23
	v_fma_f32 v25, v23, s74, -v24
	v_fmac_f32_e32 v25, 0x33a22168, v23
	v_fmac_f32_e32 v25, 0x3fc90fda, v7
	v_lshrrev_b32_e32 v7, 30, v9
	v_add_f32_e32 v23, v24, v25
	v_add_u32_e32 v9, v47, v7
.LBB0_60:                               ;   in Loop: Header=BB0_28 Depth=1
	s_or_saveexec_b64 s[16:17], s[42:43]
	v_mul_f32_e64 v7, |v0|, s75
	v_rndne_f32_e32 v49, v7
	s_xor_b64 exec, exec, s[16:17]
; %bb.61:                               ;   in Loop: Header=BB0_28 Depth=1
	v_cvt_i32_f32_e32 v9, v49
	v_fma_f32 v23, v49, s76, |v0|
	v_fmac_f32_e32 v23, 0xb3a22168, v49
	v_fmac_f32_e32 v23, 0xa7c234c4, v49
; %bb.62:                               ;   in Loop: Header=BB0_28 Depth=1
	s_or_b64 exec, exec, s[16:17]
                                        ; implicit-def: $vgpr43
                                        ; implicit-def: $vgpr45
	s_and_saveexec_b64 s[16:17], s[40:41]
	s_xor_b64 s[42:43], exec, s[16:17]
	s_cbranch_execz .LBB0_64
; %bb.63:                               ;   in Loop: Header=BB0_28 Depth=1
	v_mad_u64_u32 v[24:25], s[16:17], v26, s67, 0
	v_cmp_lt_u32_e32 vcc, 63, v39
	v_mov_b32_e32 v7, v25
	v_mad_u64_u32 v[42:43], s[16:17], v26, s68, v[7:8]
	v_mov_b32_e32 v7, v43
	v_mad_u64_u32 v[47:48], s[16:17], v26, s69, v[7:8]
	v_mov_b32_e32 v7, v48
	v_mad_u64_u32 v[58:59], s[16:17], v26, s70, v[7:8]
	v_cndmask_b32_e32 v7, 0, v52, vcc
	v_add_u32_e32 v25, v7, v39
	v_mov_b32_e32 v7, v59
	v_mad_u64_u32 v[59:60], s[16:17], v26, s71, v[7:8]
	v_cmp_lt_u32_e64 s[16:17], 31, v25
	v_cndmask_b32_e64 v7, 0, v22, s[16:17]
	v_add_u32_e32 v25, v7, v25
	v_mov_b32_e32 v7, v60
	v_mad_u64_u32 v[60:61], s[18:19], v26, s72, v[7:8]
	v_cmp_lt_u32_e64 s[18:19], 31, v25
	v_cndmask_b32_e64 v7, 0, v22, s[18:19]
	v_add_u32_e32 v25, v7, v25
	v_mov_b32_e32 v7, v61
	v_mov_b32_e32 v52, v62
	;; [unrolled: 1-line block ×3, first 2 shown]
	v_mad_u64_u32 v[61:62], s[20:21], v26, s73, v[7:8]
	v_cndmask_b32_e32 v7, v59, v47, vcc
	v_cndmask_b32_e32 v34, v60, v58, vcc
	;; [unrolled: 1-line block ×4, first 2 shown]
	v_cndmask_b32_e64 v38, v34, v7, s[16:17]
	v_cndmask_b32_e64 v34, v43, v34, s[16:17]
	;; [unrolled: 1-line block ×3, first 2 shown]
	v_cndmask_b32_e32 v42, v58, v42, vcc
	v_cndmask_b32_e64 v43, v43, v34, s[18:19]
	v_cndmask_b32_e64 v34, v34, v38, s[18:19]
	v_sub_u32_e32 v45, 32, v25
	v_cndmask_b32_e64 v7, v7, v42, s[16:17]
	v_alignbit_b32 v48, v43, v34, v45
	v_cmp_eq_u32_e64 s[20:21], 0, v25
	v_cndmask_b32_e64 v38, v38, v7, s[18:19]
	v_cndmask_b32_e64 v25, v48, v43, s[20:21]
	v_alignbit_b32 v43, v34, v38, v45
	v_cndmask_b32_e32 v24, v47, v24, vcc
	v_mov_b32_e32 v63, v53
	v_cndmask_b32_e64 v34, v43, v34, s[20:21]
	v_bfe_u32 v50, v25, 29, 1
	v_cndmask_b32_e64 v24, v42, v24, s[16:17]
	v_mov_b32_e32 v62, v52
	v_alignbit_b32 v43, v25, v34, 30
	v_sub_u32_e32 v53, 0, v50
	v_cndmask_b32_e64 v7, v7, v24, s[18:19]
	v_xor_b32_e32 v43, v43, v53
	v_alignbit_b32 v24, v38, v7, v45
	v_cndmask_b32_e64 v24, v24, v38, s[20:21]
	v_ffbh_u32_e32 v38, v43
	v_alignbit_b32 v34, v34, v24, 30
	v_min_u32_e32 v38, 32, v38
	v_alignbit_b32 v7, v24, v7, 30
	v_xor_b32_e32 v34, v34, v53
	v_sub_u32_e32 v42, 31, v38
	v_xor_b32_e32 v7, v7, v53
	v_alignbit_b32 v43, v43, v34, v42
	v_alignbit_b32 v7, v34, v7, v42
	;; [unrolled: 1-line block ×3, first 2 shown]
	v_ffbh_u32_e32 v34, v24
	v_min_u32_e32 v34, 32, v34
	v_lshrrev_b32_e32 v48, 29, v25
	v_not_b32_e32 v42, v34
	v_alignbit_b32 v7, v24, v7, v42
	v_lshlrev_b32_e32 v24, 31, v48
	v_or_b32_e32 v42, 0x33000000, v24
	v_add_lshl_u32 v34, v34, v38, 23
	v_lshrrev_b32_e32 v7, 9, v7
	v_sub_u32_e32 v34, v42, v34
	v_or_b32_e32 v24, 0.5, v24
	v_lshlrev_b32_e32 v38, 23, v38
	v_or_b32_e32 v7, v34, v7
	v_lshrrev_b32_e32 v34, 9, v43
	v_sub_u32_e32 v24, v24, v38
	v_or_b32_e32 v24, v34, v24
	v_mul_f32_e32 v34, 0x3fc90fda, v24
	v_fma_f32 v38, v24, s74, -v34
	v_fmac_f32_e32 v38, 0x33a22168, v24
	v_fmac_f32_e32 v38, 0x3fc90fda, v7
	v_lshrrev_b32_e32 v7, 30, v25
	v_not_b32_e32 v52, 63
	v_add_f32_e32 v45, v34, v38
	v_add_u32_e32 v43, v50, v7
	s_andn2_saveexec_b64 s[16:17], s[42:43]
	s_branch .LBB0_65
.LBB0_64:                               ;   in Loop: Header=BB0_28 Depth=1
	s_andn2_saveexec_b64 s[16:17], s[42:43]
.LBB0_65:                               ;   in Loop: Header=BB0_28 Depth=1
	v_cvt_i32_f32_e32 v43, v49
	v_fma_f32 v45, v49, s76, |v0|
	v_fmac_f32_e32 v45, 0xb3a22168, v49
	v_fmac_f32_e32 v45, 0xa7c234c4, v49
; %bb.66:                               ;   in Loop: Header=BB0_28 Depth=1
	s_or_b64 exec, exec, s[16:17]
                                        ; implicit-def: $vgpr50
                                        ; implicit-def: $vgpr53
	s_and_saveexec_b64 s[16:17], s[40:41]
	s_xor_b64 s[42:43], exec, s[16:17]
	s_cbranch_execz .LBB0_68
; %bb.67:                               ;   in Loop: Header=BB0_28 Depth=1
	v_mad_u64_u32 v[24:25], s[16:17], v26, s67, 0
	v_cmp_lt_u32_e32 vcc, 63, v39
	v_mov_b32_e32 v7, v25
	v_mad_u64_u32 v[47:48], s[16:17], v26, s68, v[7:8]
	v_mov_b32_e32 v7, v48
	v_mad_u64_u32 v[58:59], s[16:17], v26, s69, v[7:8]
	;; [unrolled: 2-line block ×3, first 2 shown]
	v_cndmask_b32_e32 v7, 0, v52, vcc
	v_add_u32_e32 v25, v7, v39
	v_mov_b32_e32 v7, v60
	v_mad_u64_u32 v[60:61], s[16:17], v26, s71, v[7:8]
	v_cmp_lt_u32_e64 s[16:17], 31, v25
	v_cndmask_b32_e64 v7, 0, v22, s[16:17]
	v_add_u32_e32 v25, v7, v25
	v_mov_b32_e32 v7, v61
	v_mov_b32_e32 v52, v62
	;; [unrolled: 1-line block ×3, first 2 shown]
	v_mad_u64_u32 v[61:62], s[18:19], v26, s72, v[7:8]
	v_cmp_lt_u32_e64 s[18:19], 31, v25
	v_cndmask_b32_e64 v7, 0, v22, s[18:19]
	v_add_u32_e32 v25, v7, v25
	v_mov_b32_e32 v7, v62
	v_mad_u64_u32 v[62:63], s[20:21], v26, s73, v[7:8]
	v_cndmask_b32_e32 v7, v60, v58, vcc
	v_cndmask_b32_e32 v34, v61, v59, vcc
	;; [unrolled: 1-line block ×4, first 2 shown]
	v_cndmask_b32_e64 v38, v34, v7, s[16:17]
	v_cndmask_b32_e64 v34, v42, v34, s[16:17]
	v_cndmask_b32_e64 v42, v48, v42, s[16:17]
	v_cndmask_b32_e64 v42, v42, v34, s[18:19]
	v_cndmask_b32_e64 v34, v34, v38, s[18:19]
	v_sub_u32_e32 v48, 32, v25
	v_alignbit_b32 v50, v42, v34, v48
	v_cmp_eq_u32_e64 s[20:21], 0, v25
	v_cndmask_b32_e64 v25, v50, v42, s[20:21]
	v_cndmask_b32_e32 v42, v59, v47, vcc
	v_cndmask_b32_e64 v7, v7, v42, s[16:17]
	v_cndmask_b32_e64 v38, v38, v7, s[18:19]
	v_alignbit_b32 v47, v34, v38, v48
	v_cndmask_b32_e32 v24, v58, v24, vcc
	v_mov_b32_e32 v63, v53
	v_cndmask_b32_e64 v34, v47, v34, s[20:21]
	v_bfe_u32 v55, v25, 29, 1
	v_cndmask_b32_e64 v24, v42, v24, s[16:17]
	v_mov_b32_e32 v62, v52
	v_alignbit_b32 v47, v25, v34, 30
	v_sub_u32_e32 v53, 0, v55
	v_cndmask_b32_e64 v7, v7, v24, s[18:19]
	v_xor_b32_e32 v47, v47, v53
	v_alignbit_b32 v24, v38, v7, v48
	v_cndmask_b32_e64 v24, v24, v38, s[20:21]
	v_ffbh_u32_e32 v38, v47
	v_alignbit_b32 v34, v34, v24, 30
	v_min_u32_e32 v38, 32, v38
	v_alignbit_b32 v7, v24, v7, 30
	v_xor_b32_e32 v34, v34, v53
	v_sub_u32_e32 v42, 31, v38
	v_xor_b32_e32 v7, v7, v53
	v_alignbit_b32 v47, v47, v34, v42
	v_alignbit_b32 v7, v34, v7, v42
	;; [unrolled: 1-line block ×3, first 2 shown]
	v_ffbh_u32_e32 v34, v24
	v_min_u32_e32 v34, 32, v34
	v_lshrrev_b32_e32 v50, 29, v25
	v_not_b32_e32 v42, v34
	v_alignbit_b32 v7, v24, v7, v42
	v_lshlrev_b32_e32 v24, 31, v50
	v_or_b32_e32 v42, 0x33000000, v24
	v_add_lshl_u32 v34, v34, v38, 23
	v_lshrrev_b32_e32 v7, 9, v7
	v_sub_u32_e32 v34, v42, v34
	v_or_b32_e32 v24, 0.5, v24
	v_lshlrev_b32_e32 v38, 23, v38
	v_or_b32_e32 v7, v34, v7
	v_lshrrev_b32_e32 v34, 9, v47
	v_sub_u32_e32 v24, v24, v38
	v_or_b32_e32 v24, v34, v24
	v_mul_f32_e32 v34, 0x3fc90fda, v24
	v_fma_f32 v38, v24, s74, -v34
	v_fmac_f32_e32 v38, 0x33a22168, v24
	v_fmac_f32_e32 v38, 0x3fc90fda, v7
	v_lshrrev_b32_e32 v7, 30, v25
	v_not_b32_e32 v52, 63
	v_add_f32_e32 v53, v34, v38
	v_add_u32_e32 v50, v55, v7
	s_or_saveexec_b64 s[16:17], s[42:43]
	v_mov_b32_e32 v61, 0xbe2aaa9d
	s_xor_b64 exec, exec, s[16:17]
	s_branch .LBB0_69
.LBB0_68:                               ;   in Loop: Header=BB0_28 Depth=1
	s_or_saveexec_b64 s[16:17], s[42:43]
	v_mov_b32_e32 v61, 0xbe2aaa9d
	s_xor_b64 exec, exec, s[16:17]
.LBB0_69:                               ;   in Loop: Header=BB0_28 Depth=1
	v_cvt_i32_f32_e32 v50, v49
	v_fma_f32 v53, v49, s76, |v0|
	v_fmac_f32_e32 v53, 0xb3a22168, v49
	v_fmac_f32_e32 v53, 0xa7c234c4, v49
; %bb.70:                               ;   in Loop: Header=BB0_28 Depth=1
	s_or_b64 exec, exec, s[16:17]
                                        ; implicit-def: $vgpr7
                                        ; implicit-def: $vgpr55
	s_and_saveexec_b64 s[16:17], s[40:41]
	s_xor_b64 s[40:41], exec, s[16:17]
	s_cbranch_execz .LBB0_72
; %bb.71:                               ;   in Loop: Header=BB0_28 Depth=1
	v_mad_u64_u32 v[24:25], s[16:17], v26, s67, 0
	v_cmp_lt_u32_e32 vcc, 63, v39
	v_mov_b32_e32 v7, v25
	v_mad_u64_u32 v[47:48], s[16:17], v26, s68, v[7:8]
	v_mov_b32_e32 v7, v48
	v_mad_u64_u32 v[48:49], s[16:17], v26, s69, v[7:8]
	v_mov_b32_e32 v7, v49
	v_mad_u64_u32 v[58:59], s[16:17], v26, s70, v[7:8]
	v_cndmask_b32_e32 v7, 0, v52, vcc
	v_add_u32_e32 v25, v7, v39
	v_mov_b32_e32 v7, v59
	v_mad_u64_u32 v[38:39], s[16:17], v26, s71, v[7:8]
	v_cmp_lt_u32_e64 s[16:17], 31, v25
	v_cndmask_b32_e64 v7, 0, v22, s[16:17]
	v_add_u32_e32 v25, v7, v25
	v_mov_b32_e32 v7, v39
	v_mad_u64_u32 v[59:60], s[18:19], v26, s72, v[7:8]
	v_cmp_lt_u32_e64 s[18:19], 31, v25
	v_cndmask_b32_e64 v7, 0, v22, s[18:19]
	v_add_u32_e32 v34, v7, v25
	v_mov_b32_e32 v7, v60
	v_mad_u64_u32 v[25:26], s[20:21], v26, s73, v[7:8]
	v_cndmask_b32_e32 v7, v38, v48, vcc
	v_cndmask_b32_e32 v39, v59, v58, vcc
	;; [unrolled: 1-line block ×4, first 2 shown]
	v_cndmask_b32_e64 v42, v39, v7, s[16:17]
	v_cndmask_b32_e64 v38, v25, v39, s[16:17]
	;; [unrolled: 1-line block ×5, first 2 shown]
	v_sub_u32_e32 v38, 32, v34
	v_cmp_eq_u32_e64 s[20:21], 0, v34
	v_cndmask_b32_e32 v34, v58, v47, vcc
	v_alignbit_b32 v39, v25, v26, v38
	v_cndmask_b32_e64 v7, v7, v34, s[16:17]
	v_cndmask_b32_e64 v25, v39, v25, s[20:21]
	;; [unrolled: 1-line block ×3, first 2 shown]
	v_alignbit_b32 v42, v26, v39, v38
	v_cndmask_b32_e32 v24, v48, v24, vcc
	v_cndmask_b32_e64 v26, v42, v26, s[20:21]
	v_bfe_u32 v49, v25, 29, 1
	v_cndmask_b32_e64 v24, v34, v24, s[16:17]
	v_alignbit_b32 v42, v25, v26, 30
	v_sub_u32_e32 v55, 0, v49
	v_cndmask_b32_e64 v7, v7, v24, s[18:19]
	v_xor_b32_e32 v42, v42, v55
	v_alignbit_b32 v24, v39, v7, v38
	v_cndmask_b32_e64 v24, v24, v39, s[20:21]
	v_ffbh_u32_e32 v34, v42
	v_alignbit_b32 v26, v26, v24, 30
	v_min_u32_e32 v34, 32, v34
	v_alignbit_b32 v7, v24, v7, 30
	v_xor_b32_e32 v26, v26, v55
	v_sub_u32_e32 v38, 31, v34
	v_xor_b32_e32 v7, v7, v55
	v_alignbit_b32 v39, v42, v26, v38
	v_alignbit_b32 v7, v26, v7, v38
	;; [unrolled: 1-line block ×3, first 2 shown]
	v_ffbh_u32_e32 v26, v24
	v_min_u32_e32 v26, 32, v26
	v_lshrrev_b32_e32 v47, 29, v25
	v_not_b32_e32 v38, v26
	v_alignbit_b32 v7, v24, v7, v38
	v_lshlrev_b32_e32 v24, 31, v47
	v_or_b32_e32 v38, 0x33000000, v24
	v_add_lshl_u32 v26, v26, v34, 23
	v_lshrrev_b32_e32 v7, 9, v7
	v_sub_u32_e32 v26, v38, v26
	v_or_b32_e32 v24, 0.5, v24
	v_lshlrev_b32_e32 v34, 23, v34
	v_or_b32_e32 v7, v26, v7
	v_lshrrev_b32_e32 v26, 9, v39
	v_sub_u32_e32 v24, v24, v34
	v_or_b32_e32 v24, v26, v24
	v_mul_f32_e32 v26, 0x3fc90fda, v24
	v_fma_f32 v34, v24, s74, -v26
	v_fmac_f32_e32 v34, 0x33a22168, v24
	v_fmac_f32_e32 v34, 0x3fc90fda, v7
	v_lshrrev_b32_e32 v7, 30, v25
	v_add_f32_e32 v55, v26, v34
	v_add_u32_e32 v7, v49, v7
                                        ; implicit-def: $vgpr49
	s_andn2_saveexec_b64 s[16:17], s[40:41]
	s_cbranch_execnz .LBB0_73
	s_branch .LBB0_74
.LBB0_72:                               ;   in Loop: Header=BB0_28 Depth=1
	s_andn2_saveexec_b64 s[16:17], s[40:41]
.LBB0_73:                               ;   in Loop: Header=BB0_28 Depth=1
	v_cvt_i32_f32_e32 v7, v49
	v_fma_f32 v55, v49, s76, |v0|
	v_fmac_f32_e32 v55, 0xb3a22168, v49
	v_fmac_f32_e32 v55, 0xa7c234c4, v49
.LBB0_74:                               ;   in Loop: Header=BB0_28 Depth=1
	s_or_b64 exec, exec, s[16:17]
	v_mul_f32_e32 v24, v53, v53
	v_mov_b32_e32 v25, 0x3c0881c4
	v_fmac_f32_e32 v25, 0xb94c1982, v24
	v_fma_f32 v25, v24, v25, v61
	v_mul_f32_e32 v25, v24, v25
	v_fmac_f32_e32 v53, v53, v25
	v_mov_b32_e32 v25, 0xbab64f3b
	v_fmac_f32_e32 v25, 0x37d75334, v24
	v_mov_b32_e32 v34, 0x3d2aabf7
	v_fma_f32 v25, v24, v25, v34
	v_fma_f32 v25, v24, v25, v41
	v_fma_f32 v24, v24, v25, 1.0
	v_and_b32_e32 v25, 1, v50
	v_cmp_eq_u32_e32 vcc, 0, v25
	v_lshlrev_b32_e32 v25, 30, v50
	v_cndmask_b32_e64 v24, -v53, v24, vcc
	v_and_b32_e32 v25, 0x80000000, v25
	v_xor_b32_e32 v24, v25, v24
	v_mul_f32_e32 v25, v23, v23
	v_mov_b32_e32 v26, 0x3c0881c4
	v_fmac_f32_e32 v26, 0xb94c1982, v25
	v_fma_f32 v26, v25, v26, v61
	v_mul_f32_e32 v26, v25, v26
	v_fmac_f32_e32 v23, v23, v26
	v_mov_b32_e32 v26, 0xbab64f3b
	v_fmac_f32_e32 v26, 0x37d75334, v25
	v_fma_f32 v26, v25, v26, v34
	v_fma_f32 v26, v25, v26, v41
	v_fma_f32 v25, v25, v26, 1.0
	v_and_b32_e32 v26, 1, v9
	v_cmp_eq_u32_e32 vcc, 0, v26
	v_lshlrev_b32_e32 v9, 30, v9
	v_cndmask_b32_e64 v23, -v23, v25, vcc
	v_and_b32_e32 v9, 0x80000000, v9
	v_xor_b32_e32 v9, v9, v23
	v_mul_f32_e32 v23, v45, v45
	v_mov_b32_e32 v25, 0x3c0881c4
	v_fmac_f32_e32 v25, 0xb94c1982, v23
	v_fma_f32 v25, v23, v25, v61
	v_mul_f32_e32 v25, v23, v25
	v_fmac_f32_e32 v45, v45, v25
	v_mov_b32_e32 v25, 0xbab64f3b
	v_fmac_f32_e32 v25, 0x37d75334, v23
	v_fma_f32 v25, v23, v25, v34
	v_fma_f32 v25, v23, v25, v41
	v_fma_f32 v23, v23, v25, 1.0
	v_and_b32_e32 v25, 1, v43
	v_cmp_eq_u32_e32 vcc, 0, v25
	v_lshlrev_b32_e32 v25, 30, v43
	v_and_b32_e32 v25, 0x80000000, v25
	v_cndmask_b32_e32 v23, v23, v45, vcc
	v_xor_b32_e32 v25, v1, v25
	v_xor_b32_e32 v23, v25, v23
	;; [unrolled: 1-line block ×3, first 2 shown]
	v_add_f32_e32 v9, v9, v23
	v_mul_f32_e32 v23, v55, v55
	v_mov_b32_e32 v25, 0x3c0881c4
	v_fmac_f32_e32 v25, 0xb94c1982, v23
	v_fma_f32 v25, v23, v25, v61
	v_mul_f32_e32 v25, v23, v25
	v_fmac_f32_e32 v55, v55, v25
	v_mov_b32_e32 v25, 0xbab64f3b
	v_fmac_f32_e32 v25, 0x37d75334, v23
	v_fma_f32 v25, v23, v25, v34
	v_fma_f32 v25, v23, v25, v41
	v_fma_f32 v23, v23, v25, 1.0
	v_and_b32_e32 v25, 1, v7
	v_lshlrev_b32_e32 v7, 30, v7
	v_cmp_eq_u32_e64 s[16:17], 0, v25
	v_and_b32_e32 v7, 0x80000000, v7
	v_cndmask_b32_e64 v23, v23, v55, s[16:17]
	v_xor_b32_e32 v1, v1, v7
	v_xor_b32_e32 v1, v1, v23
	v_cmp_class_f32_e64 vcc, v0, s77
	v_xor_b32_e32 v0, v1, v0
	v_sub_f32_e32 v0, v24, v0
	v_cndmask_b32_e32 v9, v27, v9, vcc
	v_cndmask_b32_e32 v0, v27, v0, vcc
	v_mul_f32_e32 v9, v51, v9
	v_mov_b32_e32 v53, 0x3d2aabf7
	v_mul_f32_e32 v23, v51, v0
.LBB0_75:                               ;   in Loop: Header=BB0_28 Depth=1
	s_andn2_saveexec_b64 s[34:35], s[34:35]
	s_cbranch_execz .LBB0_81
; %bb.76:                               ;   in Loop: Header=BB0_28 Depth=1
	global_load_dword v0, v[62:63], off
                                        ; implicit-def: $vgpr9
                                        ; implicit-def: $vgpr7
	s_waitcnt vmcnt(0)
	v_mul_f32_e32 v0, 0x40490fdb, v0
	v_mul_f32_e32 v0, v14, v0
	v_and_b32_e32 v1, 0x7fffffff, v0
	v_cmp_nlt_f32_e64 s[16:17], |v0|, s33
	s_and_saveexec_b64 s[18:19], s[16:17]
	s_xor_b64 s[40:41], exec, s[18:19]
	s_cbranch_execz .LBB0_78
; %bb.77:                               ;   in Loop: Header=BB0_28 Depth=1
	v_and_b32_e32 v7, 0x7fffff, v1
	v_or_b32_e32 v9, 0x800000, v7
	v_mad_u64_u32 v[23:24], s[16:17], v9, s67, 0
	v_mov_b32_e32 v7, v24
	v_mad_u64_u32 v[24:25], s[16:17], v9, s68, v[7:8]
	v_mov_b32_e32 v7, v25
	;; [unrolled: 2-line block ×3, first 2 shown]
	v_mad_u64_u32 v[38:39], s[16:17], v9, s70, v[7:8]
	v_lshrrev_b32_e32 v7, 23, v1
	v_add_u32_e32 v26, 0xffffff88, v7
	v_mov_b32_e32 v7, v39
	v_mad_u64_u32 v[42:43], s[16:17], v9, s71, v[7:8]
	v_cmp_lt_u32_e32 vcc, 63, v26
	v_cndmask_b32_e32 v7, 0, v52, vcc
	v_add_u32_e32 v26, v7, v26
	v_mov_b32_e32 v7, v43
	v_mad_u64_u32 v[47:48], s[16:17], v9, s72, v[7:8]
	v_cmp_lt_u32_e64 s[16:17], 31, v26
	v_cndmask_b32_e64 v7, 0, v22, s[16:17]
	v_add_u32_e32 v26, v7, v26
	v_mov_b32_e32 v7, v48
	v_mad_u64_u32 v[48:49], s[18:19], v9, s73, v[7:8]
	v_cmp_lt_u32_e64 s[18:19], 31, v26
	v_cndmask_b32_e64 v7, 0, v22, s[18:19]
	v_add_u32_e32 v7, v7, v26
	v_cndmask_b32_e32 v9, v47, v38, vcc
	v_cndmask_b32_e32 v26, v48, v42, vcc
	v_cndmask_b32_e32 v34, v49, v47, vcc
	v_cndmask_b32_e64 v39, v26, v9, s[16:17]
	v_cndmask_b32_e64 v26, v34, v26, s[16:17]
	v_cndmask_b32_e32 v34, v42, v25, vcc
	v_cndmask_b32_e64 v9, v9, v34, s[16:17]
	v_sub_u32_e32 v42, 32, v7
	v_cmp_eq_u32_e64 s[20:21], 0, v7
	v_cndmask_b32_e32 v7, v38, v24, vcc
	v_cndmask_b32_e64 v26, v26, v39, s[18:19]
	v_cndmask_b32_e64 v39, v39, v9, s[18:19]
	;; [unrolled: 1-line block ×3, first 2 shown]
	v_alignbit_b32 v43, v26, v39, v42
	v_cndmask_b32_e64 v9, v9, v24, s[18:19]
	v_cndmask_b32_e64 v26, v43, v26, s[20:21]
	v_alignbit_b32 v34, v39, v9, v42
	v_cndmask_b32_e32 v23, v25, v23, vcc
	v_cndmask_b32_e64 v34, v34, v39, s[20:21]
	v_bfe_u32 v43, v26, 29, 1
	v_cndmask_b32_e64 v7, v7, v23, s[16:17]
	v_alignbit_b32 v38, v26, v34, 30
	v_sub_u32_e32 v45, 0, v43
	v_cndmask_b32_e64 v7, v24, v7, s[18:19]
	v_xor_b32_e32 v38, v38, v45
	v_alignbit_b32 v23, v9, v7, v42
	v_cndmask_b32_e64 v9, v23, v9, s[20:21]
	v_ffbh_u32_e32 v24, v38
	v_alignbit_b32 v23, v34, v9, 30
	v_min_u32_e32 v24, 32, v24
	v_alignbit_b32 v7, v9, v7, 30
	v_xor_b32_e32 v23, v23, v45
	v_sub_u32_e32 v25, 31, v24
	v_xor_b32_e32 v7, v7, v45
	v_alignbit_b32 v34, v38, v23, v25
	v_alignbit_b32 v7, v23, v7, v25
	v_alignbit_b32 v9, v34, v7, 9
	v_ffbh_u32_e32 v23, v9
	v_min_u32_e32 v23, 32, v23
	v_lshrrev_b32_e32 v39, 29, v26
	v_not_b32_e32 v25, v23
	v_alignbit_b32 v7, v9, v7, v25
	v_lshlrev_b32_e32 v9, 31, v39
	v_or_b32_e32 v25, 0x33000000, v9
	v_add_lshl_u32 v23, v23, v24, 23
	v_lshrrev_b32_e32 v7, 9, v7
	v_sub_u32_e32 v23, v25, v23
	v_or_b32_e32 v9, 0.5, v9
	v_lshlrev_b32_e32 v24, 23, v24
	v_or_b32_e32 v7, v23, v7
	v_lshrrev_b32_e32 v23, 9, v34
	v_sub_u32_e32 v9, v9, v24
	v_or_b32_e32 v9, v23, v9
	v_mul_f32_e32 v23, 0x3fc90fda, v9
	v_fma_f32 v24, v9, s74, -v23
	v_fmac_f32_e32 v24, 0x33a22168, v9
	v_fmac_f32_e32 v24, 0x3fc90fda, v7
	v_lshrrev_b32_e32 v9, 30, v26
	v_add_f32_e32 v7, v23, v24
	v_add_u32_e32 v9, v43, v9
.LBB0_78:                               ;   in Loop: Header=BB0_28 Depth=1
	s_andn2_saveexec_b64 s[16:17], s[40:41]
; %bb.79:                               ;   in Loop: Header=BB0_28 Depth=1
	v_mul_f32_e64 v7, |v0|, s75
	v_rndne_f32_e32 v23, v7
	v_cvt_i32_f32_e32 v9, v23
	v_fma_f32 v7, v23, s76, |v0|
	v_fmac_f32_e32 v7, 0xb3a22168, v23
	v_fmac_f32_e32 v7, 0xa7c234c4, v23
; %bb.80:                               ;   in Loop: Header=BB0_28 Depth=1
	s_or_b64 exec, exec, s[16:17]
	v_mul_f32_e32 v23, v7, v7
	v_mov_b32_e32 v25, 0xbf039337
	v_fmac_f32_e32 v25, 0x3c971480, v23
	v_mov_b32_e32 v26, 0x3f93f425
	v_fma_f32 v25, v23, v25, v26
	v_rcp_f32_e32 v25, v25
	v_mov_b32_e32 v24, 0x3ec54587
	v_fmac_f32_e32 v24, 0xbc8cedd3, v23
	v_and_b32_e32 v9, 1, v9
	v_mul_f32_e32 v24, v24, v25
	v_mul_f32_e32 v23, v23, v24
	v_fma_f32 v24, v23, v7, v7
	v_sub_f32_e32 v25, v24, v7
	v_fma_f32 v7, v23, v7, -v25
	v_rcp_f32_e32 v23, v24
	v_cmp_eq_u32_e32 vcc, 0, v9
	v_xor_b32_e32 v1, v1, v0
	v_fma_f32 v25, v24, -v23, 1.0
	v_fma_f32 v7, v7, -v23, v25
	v_fma_f32 v7, v7, -v23, -v23
	v_cndmask_b32_e32 v7, v7, v24, vcc
	v_xor_b32_e32 v1, v1, v7
	v_cmp_class_f32_e64 vcc, v0, s77
	v_cndmask_b32_e32 v0, v27, v1, vcc
	v_mul_f32_e32 v0, v14, v0
	v_mul_f32_e32 v25, v20, v20
	v_div_scale_f32 v1, s[16:17], v25, v25, v0
	v_rcp_f32_e32 v7, v1
	v_fma_f32 v9, -v1, v7, 1.0
	v_fmac_f32_e32 v7, v9, v7
	v_div_scale_f32 v9, vcc, v0, v25, v0
	v_mul_f32_e32 v23, v9, v7
	v_fma_f32 v24, -v1, v23, v9
	v_fmac_f32_e32 v23, v24, v7
	v_fma_f32 v1, -v1, v23, v9
	v_div_fmas_f32 v1, v1, v7, v23
	v_div_fixup_f32 v0, v1, v25, v0
	buffer_load_dword v1, off, s[88:91], 0 offset:260 ; 4-byte Folded Reload
	s_waitcnt vmcnt(0)
	v_mul_f32_e32 v9, v1, v0
	buffer_load_dword v1, off, s[88:91], 0  ; 4-byte Folded Reload
	s_waitcnt vmcnt(0)
	v_mul_f32_e32 v23, v1, v0
.LBB0_81:                               ;   in Loop: Header=BB0_28 Depth=1
	s_or_b64 exec, exec, s[34:35]
.LBB0_82:                               ;   in Loop: Header=BB0_28 Depth=1
	s_or_b64 exec, exec, s[30:31]
                                        ; implicit-def: $vgpr0
.LBB0_83:                               ;   in Loop: Header=BB0_28 Depth=1
	s_andn2_saveexec_b64 s[28:29], s[28:29]
	s_cbranch_execz .LBB0_115
; %bb.84:                               ;   in Loop: Header=BB0_28 Depth=1
	v_cmp_lt_i32_e32 vcc, 41, v0
	s_and_saveexec_b64 s[16:17], vcc
	s_xor_b64 s[16:17], exec, s[16:17]
	s_cbranch_execz .LBB0_90
; %bb.85:                               ;   in Loop: Header=BB0_28 Depth=1
	v_cmp_lt_i32_e32 vcc, 42, v0
                                        ; implicit-def: $vgpr23
                                        ; implicit-def: $vgpr9
	s_and_saveexec_b64 s[18:19], vcc
	s_xor_b64 s[18:19], exec, s[18:19]
	s_cbranch_execz .LBB0_87
; %bb.86:                               ;   in Loop: Header=BB0_28 Depth=1
	global_load_dword v0, v[62:63], off
	buffer_load_dword v23, off, s[88:91], 0 offset:212 ; 4-byte Folded Reload
	buffer_load_dword v24, off, s[88:91], 0 offset:216 ; 4-byte Folded Reload
	s_waitcnt vmcnt(2)
	v_add_f32_e32 v9, -0.5, v0
	s_waitcnt vmcnt(0)
	global_load_dword v1, v[23:24], off
	s_waitcnt vmcnt(0)
	v_add_f32_e32 v23, -0.5, v1
.LBB0_87:                               ;   in Loop: Header=BB0_28 Depth=1
	s_andn2_saveexec_b64 s[18:19], s[18:19]
	s_cbranch_execz .LBB0_89
; %bb.88:                               ;   in Loop: Header=BB0_28 Depth=1
	buffer_load_dword v23, off, s[88:91], 0 offset:256 ; 4-byte Folded Reload
	buffer_load_dword v9, off, s[88:91], 0 offset:252 ; 4-byte Folded Reload
.LBB0_89:                               ;   in Loop: Header=BB0_28 Depth=1
	s_or_b64 exec, exec, s[18:19]
                                        ; implicit-def: $vgpr0
.LBB0_90:                               ;   in Loop: Header=BB0_28 Depth=1
	s_andn2_saveexec_b64 s[30:31], s[16:17]
	s_cbranch_execz .LBB0_114
; %bb.91:                               ;   in Loop: Header=BB0_28 Depth=1
	v_cmp_lt_i32_e32 vcc, 40, v0
	s_and_saveexec_b64 s[16:17], vcc
	s_xor_b64 s[34:35], exec, s[16:17]
	s_cbranch_execz .LBB0_101
; %bb.92:                               ;   in Loop: Header=BB0_28 Depth=1
	global_load_dword v0, v[62:63], off
                                        ; implicit-def: $vgpr26
	s_waitcnt vmcnt(0)
	v_mul_f32_e32 v0, 0x40490fdb, v0
	v_mul_f32_e32 v0, v14, v0
	v_and_b32_e32 v1, 0x7fffffff, v0
	v_lshrrev_b32_e32 v7, 23, v1
	v_and_b32_e32 v9, 0x7fffff, v1
	v_cmp_nlt_f32_e64 s[40:41], |v0|, s33
	v_add_u32_e32 v39, 0xffffff88, v7
	v_or_b32_e32 v23, 0x800000, v9
                                        ; implicit-def: $vgpr9
	s_and_saveexec_b64 s[16:17], s[40:41]
	s_xor_b64 s[42:43], exec, s[16:17]
	s_cbranch_execz .LBB0_94
; %bb.93:                               ;   in Loop: Header=BB0_28 Depth=1
	v_mad_u64_u32 v[24:25], s[16:17], v23, s67, 0
	v_cmp_lt_u32_e32 vcc, 63, v39
	v_mov_b32_e32 v7, v25
	v_mad_u64_u32 v[25:26], s[16:17], v23, s68, v[7:8]
	v_mov_b32_e32 v7, v26
	v_mad_u64_u32 v[42:43], s[16:17], v23, s69, v[7:8]
	v_mov_b32_e32 v7, v43
	v_mad_u64_u32 v[47:48], s[16:17], v23, s70, v[7:8]
	v_cndmask_b32_e32 v7, 0, v52, vcc
	v_add_u32_e32 v9, v7, v39
	v_mov_b32_e32 v7, v48
	v_mad_u64_u32 v[48:49], s[16:17], v23, s71, v[7:8]
	v_cmp_lt_u32_e64 s[16:17], 31, v9
	v_cndmask_b32_e64 v7, 0, v22, s[16:17]
	v_add_u32_e32 v9, v7, v9
	v_mov_b32_e32 v7, v49
	v_mad_u64_u32 v[49:50], s[18:19], v23, s72, v[7:8]
	v_cmp_lt_u32_e64 s[18:19], 31, v9
	v_cndmask_b32_e64 v7, 0, v22, s[18:19]
	v_add_u32_e32 v9, v7, v9
	v_mov_b32_e32 v7, v50
	v_mad_u64_u32 v[58:59], s[20:21], v23, s73, v[7:8]
	v_cndmask_b32_e32 v7, v48, v42, vcc
	v_cndmask_b32_e32 v26, v49, v47, vcc
	;; [unrolled: 1-line block ×4, first 2 shown]
	v_cndmask_b32_e64 v34, v26, v7, s[16:17]
	v_cndmask_b32_e64 v26, v38, v26, s[16:17]
	;; [unrolled: 1-line block ×3, first 2 shown]
	v_cndmask_b32_e32 v25, v47, v25, vcc
	v_cndmask_b32_e64 v38, v38, v26, s[18:19]
	v_cndmask_b32_e64 v26, v26, v34, s[18:19]
	v_sub_u32_e32 v43, 32, v9
	v_cndmask_b32_e64 v7, v7, v25, s[16:17]
	v_alignbit_b32 v45, v38, v26, v43
	v_cmp_eq_u32_e64 s[20:21], 0, v9
	v_cndmask_b32_e64 v34, v34, v7, s[18:19]
	v_cndmask_b32_e32 v24, v42, v24, vcc
	v_cndmask_b32_e64 v9, v45, v38, s[20:21]
	v_alignbit_b32 v38, v26, v34, v43
	v_cndmask_b32_e64 v24, v25, v24, s[16:17]
	v_cndmask_b32_e64 v26, v38, v26, s[20:21]
	v_bfe_u32 v47, v9, 29, 1
	v_cndmask_b32_e64 v7, v7, v24, s[18:19]
	v_alignbit_b32 v38, v9, v26, 30
	v_sub_u32_e32 v48, 0, v47
	v_alignbit_b32 v24, v34, v7, v43
	v_xor_b32_e32 v38, v38, v48
	v_cndmask_b32_e64 v24, v24, v34, s[20:21]
	v_alignbit_b32 v25, v26, v24, 30
	v_ffbh_u32_e32 v26, v38
	v_min_u32_e32 v26, 32, v26
	v_alignbit_b32 v7, v24, v7, 30
	v_xor_b32_e32 v25, v25, v48
	v_sub_u32_e32 v34, 31, v26
	v_xor_b32_e32 v7, v7, v48
	v_alignbit_b32 v38, v38, v25, v34
	v_alignbit_b32 v7, v25, v7, v34
	;; [unrolled: 1-line block ×3, first 2 shown]
	v_ffbh_u32_e32 v25, v24
	v_min_u32_e32 v25, 32, v25
	v_lshrrev_b32_e32 v45, 29, v9
	v_not_b32_e32 v34, v25
	v_alignbit_b32 v7, v24, v7, v34
	v_lshlrev_b32_e32 v24, 31, v45
	v_or_b32_e32 v34, 0x33000000, v24
	v_add_lshl_u32 v25, v25, v26, 23
	v_lshrrev_b32_e32 v7, 9, v7
	v_sub_u32_e32 v25, v34, v25
	v_or_b32_e32 v24, 0.5, v24
	v_lshlrev_b32_e32 v26, 23, v26
	v_or_b32_e32 v7, v25, v7
	v_lshrrev_b32_e32 v25, 9, v38
	v_sub_u32_e32 v24, v24, v26
	v_or_b32_e32 v24, v25, v24
	v_mul_f32_e32 v25, 0x3fc90fda, v24
	v_fma_f32 v26, v24, s74, -v25
	v_fmac_f32_e32 v26, 0x33a22168, v24
	v_fmac_f32_e32 v26, 0x3fc90fda, v7
	v_lshrrev_b32_e32 v7, 30, v9
	v_add_f32_e32 v26, v25, v26
	v_add_u32_e32 v9, v47, v7
.LBB0_94:                               ;   in Loop: Header=BB0_28 Depth=1
	s_or_saveexec_b64 s[16:17], s[42:43]
	v_mul_f32_e64 v7, |v0|, s75
	v_rndne_f32_e32 v45, v7
	s_xor_b64 exec, exec, s[16:17]
; %bb.95:                               ;   in Loop: Header=BB0_28 Depth=1
	v_cvt_i32_f32_e32 v9, v45
	v_fma_f32 v26, v45, s76, |v0|
	v_fmac_f32_e32 v26, 0xb3a22168, v45
	v_fmac_f32_e32 v26, 0xa7c234c4, v45
; %bb.96:                               ;   in Loop: Header=BB0_28 Depth=1
	s_or_b64 exec, exec, s[16:17]
                                        ; implicit-def: $vgpr7
                                        ; implicit-def: $vgpr43
	s_and_saveexec_b64 s[16:17], s[40:41]
	s_xor_b64 s[40:41], exec, s[16:17]
	s_cbranch_execz .LBB0_98
; %bb.97:                               ;   in Loop: Header=BB0_28 Depth=1
	v_mad_u64_u32 v[24:25], s[16:17], v23, s67, 0
	v_cmp_lt_u32_e32 vcc, 63, v39
	v_mov_b32_e32 v7, v25
	v_mad_u64_u32 v[42:43], s[16:17], v23, s68, v[7:8]
	v_mov_b32_e32 v7, v43
	v_mad_u64_u32 v[47:48], s[16:17], v23, s69, v[7:8]
	;; [unrolled: 2-line block ×3, first 2 shown]
	v_cndmask_b32_e32 v7, 0, v52, vcc
	v_add_u32_e32 v25, v7, v39
	v_mov_b32_e32 v7, v49
	v_mad_u64_u32 v[38:39], s[16:17], v23, s71, v[7:8]
	v_cmp_lt_u32_e64 s[16:17], 31, v25
	v_cndmask_b32_e64 v7, 0, v22, s[16:17]
	v_add_u32_e32 v25, v7, v25
	v_mov_b32_e32 v7, v39
	v_mad_u64_u32 v[49:50], s[18:19], v23, s72, v[7:8]
	v_cmp_lt_u32_e64 s[18:19], 31, v25
	v_cndmask_b32_e64 v7, 0, v22, s[18:19]
	v_add_u32_e32 v25, v7, v25
	v_mov_b32_e32 v7, v50
	v_mad_u64_u32 v[58:59], s[20:21], v23, s73, v[7:8]
	v_cndmask_b32_e32 v7, v38, v47, vcc
	v_cndmask_b32_e32 v23, v49, v48, vcc
	;; [unrolled: 1-line block ×4, first 2 shown]
	v_cndmask_b32_e64 v34, v23, v7, s[16:17]
	v_cndmask_b32_e64 v23, v38, v23, s[16:17]
	;; [unrolled: 1-line block ×5, first 2 shown]
	v_sub_u32_e32 v39, 32, v25
	v_alignbit_b32 v43, v38, v23, v39
	v_cmp_eq_u32_e64 s[20:21], 0, v25
	v_cndmask_b32_e64 v25, v43, v38, s[20:21]
	v_cndmask_b32_e32 v38, v48, v42, vcc
	v_cndmask_b32_e64 v7, v7, v38, s[16:17]
	v_cndmask_b32_e64 v34, v34, v7, s[18:19]
	v_alignbit_b32 v42, v23, v34, v39
	v_cndmask_b32_e32 v24, v47, v24, vcc
	v_cndmask_b32_e64 v23, v42, v23, s[20:21]
	v_bfe_u32 v45, v25, 29, 1
	v_cndmask_b32_e64 v24, v38, v24, s[16:17]
	v_alignbit_b32 v42, v25, v23, 30
	v_sub_u32_e32 v48, 0, v45
	v_cndmask_b32_e64 v7, v7, v24, s[18:19]
	v_xor_b32_e32 v42, v42, v48
	v_alignbit_b32 v24, v34, v7, v39
	v_cndmask_b32_e64 v24, v24, v34, s[20:21]
	v_ffbh_u32_e32 v34, v42
	v_alignbit_b32 v23, v23, v24, 30
	v_min_u32_e32 v34, 32, v34
	v_alignbit_b32 v7, v24, v7, 30
	v_xor_b32_e32 v23, v23, v48
	v_sub_u32_e32 v38, 31, v34
	v_xor_b32_e32 v7, v7, v48
	v_alignbit_b32 v39, v42, v23, v38
	v_alignbit_b32 v7, v23, v7, v38
	;; [unrolled: 1-line block ×3, first 2 shown]
	v_ffbh_u32_e32 v24, v23
	v_min_u32_e32 v24, 32, v24
	v_lshrrev_b32_e32 v43, 29, v25
	v_not_b32_e32 v38, v24
	v_alignbit_b32 v7, v23, v7, v38
	v_lshlrev_b32_e32 v23, 31, v43
	v_or_b32_e32 v38, 0x33000000, v23
	v_add_lshl_u32 v24, v24, v34, 23
	v_lshrrev_b32_e32 v7, 9, v7
	v_sub_u32_e32 v24, v38, v24
	v_or_b32_e32 v23, 0.5, v23
	v_lshlrev_b32_e32 v34, 23, v34
	v_or_b32_e32 v7, v24, v7
	v_lshrrev_b32_e32 v24, 9, v39
	v_sub_u32_e32 v23, v23, v34
	v_or_b32_e32 v23, v24, v23
	v_mul_f32_e32 v24, 0x3fc90fda, v23
	v_fma_f32 v34, v23, s74, -v24
	v_fmac_f32_e32 v34, 0x33a22168, v23
	v_fmac_f32_e32 v34, 0x3fc90fda, v7
	v_lshrrev_b32_e32 v7, 30, v25
	v_add_f32_e32 v43, v24, v34
	v_add_u32_e32 v7, v45, v7
                                        ; implicit-def: $vgpr45
	s_andn2_saveexec_b64 s[16:17], s[40:41]
	s_cbranch_execnz .LBB0_99
	s_branch .LBB0_100
.LBB0_98:                               ;   in Loop: Header=BB0_28 Depth=1
	s_andn2_saveexec_b64 s[16:17], s[40:41]
.LBB0_99:                               ;   in Loop: Header=BB0_28 Depth=1
	v_cvt_i32_f32_e32 v7, v45
	v_fma_f32 v43, v45, s76, |v0|
	v_fmac_f32_e32 v43, 0xb3a22168, v45
	v_fmac_f32_e32 v43, 0xa7c234c4, v45
.LBB0_100:                              ;   in Loop: Header=BB0_28 Depth=1
	s_or_b64 exec, exec, s[16:17]
	v_mul_f32_e32 v23, v26, v26
	v_mov_b32_e32 v24, 0x3c0881c4
	v_fmac_f32_e32 v24, 0xb94c1982, v23
	v_fma_f32 v24, v23, v24, v61
	v_mul_f32_e32 v24, v23, v24
	v_fmac_f32_e32 v26, v26, v24
	v_mov_b32_e32 v24, 0xbab64f3b
	v_fmac_f32_e32 v24, 0x37d75334, v23
	v_mov_b32_e32 v25, 0x3d2aabf7
	v_fma_f32 v24, v23, v24, v25
	v_fma_f32 v24, v23, v24, v41
	v_fma_f32 v23, v23, v24, 1.0
	v_and_b32_e32 v24, 1, v9
	v_lshlrev_b32_e32 v9, 30, v9
	v_cmp_eq_u32_e32 vcc, 0, v24
	v_and_b32_e32 v9, 0x80000000, v9
	v_xor_b32_e32 v1, v1, v0
	v_cndmask_b32_e32 v23, v23, v26, vcc
	v_xor_b32_e32 v1, v1, v9
	v_xor_b32_e32 v1, v1, v23
	v_cmp_class_f32_e64 vcc, v0, s77
	v_cndmask_b32_e32 v9, v27, v1, vcc
	v_mul_f32_e32 v1, v43, v43
	v_mov_b32_e32 v23, 0x3c0881c4
	v_fmac_f32_e32 v23, 0xb94c1982, v1
	v_fma_f32 v23, v1, v23, v61
	v_mul_f32_e32 v23, v1, v23
	v_fmac_f32_e32 v43, v43, v23
	v_mov_b32_e32 v23, 0xbab64f3b
	v_fmac_f32_e32 v23, 0x37d75334, v1
	v_fma_f32 v23, v1, v23, v25
	v_fma_f32 v23, v1, v23, v41
	v_fma_f32 v1, v1, v23, 1.0
	v_and_b32_e32 v23, 1, v7
	v_cmp_eq_u32_e64 s[16:17], 0, v23
	v_lshlrev_b32_e32 v7, 30, v7
	v_cndmask_b32_e64 v1, -v43, v1, s[16:17]
	v_and_b32_e32 v7, 0x80000000, v7
	v_xor_b32_e32 v1, v7, v1
	v_mul_f32_e32 v0, v9, v9
	v_cndmask_b32_e32 v1, v27, v1, vcc
	v_div_scale_f32 v7, s[16:17], v1, v1, v0
	v_div_scale_f32 v23, vcc, v0, v1, v0
	v_mov_b32_e32 v53, 0x3d2aabf7
	v_rcp_f32_e32 v24, v7
	v_fma_f32 v25, -v7, v24, 1.0
	v_fmac_f32_e32 v24, v25, v24
	v_mul_f32_e32 v25, v23, v24
	v_fma_f32 v26, -v7, v25, v23
	v_fmac_f32_e32 v25, v26, v24
	v_fma_f32 v7, -v7, v25, v23
	v_div_fmas_f32 v7, v7, v24, v25
	v_div_fixup_f32 v23, v7, v1, v0
                                        ; implicit-def: $vgpr0
.LBB0_101:                              ;   in Loop: Header=BB0_28 Depth=1
	s_andn2_saveexec_b64 s[34:35], s[34:35]
	s_cbranch_execz .LBB0_113
; %bb.102:                              ;   in Loop: Header=BB0_28 Depth=1
	v_cmp_eq_u32_e32 vcc, 34, v0
	s_and_saveexec_b64 s[40:41], vcc
	s_cbranch_execz .LBB0_112
; %bb.103:                              ;   in Loop: Header=BB0_28 Depth=1
	global_load_dword v1, v[62:63], off
	buffer_load_dword v23, off, s[88:91], 0 offset:212 ; 4-byte Folded Reload
	buffer_load_dword v24, off, s[88:91], 0 offset:216 ; 4-byte Folded Reload
                                        ; implicit-def: $vgpr26
	s_waitcnt vmcnt(2)
	v_add_f32_e32 v1, v1, v1
	s_waitcnt vmcnt(0)
	global_load_dword v0, v[23:24], off
	v_mul_f32_e32 v1, 0x40490fdb, v1
	v_and_b32_e32 v23, 0x7fffffff, v1
	v_lshrrev_b32_e32 v7, 23, v23
	v_and_b32_e32 v9, 0x7fffff, v23
	v_cmp_nlt_f32_e64 s[42:43], |v1|, s33
	v_add_u32_e32 v43, 0xffffff88, v7
	v_or_b32_e32 v39, 0x800000, v9
                                        ; implicit-def: $vgpr9
	s_and_saveexec_b64 s[16:17], s[42:43]
	s_xor_b64 s[44:45], exec, s[16:17]
	s_cbranch_execz .LBB0_105
; %bb.104:                              ;   in Loop: Header=BB0_28 Depth=1
	v_mad_u64_u32 v[24:25], s[16:17], v39, s67, 0
	v_cmp_lt_u32_e32 vcc, 63, v43
	v_mov_b32_e32 v7, v25
	v_mad_u64_u32 v[25:26], s[16:17], v39, s68, v[7:8]
	v_mov_b32_e32 v7, v26
	v_mad_u64_u32 v[47:48], s[16:17], v39, s69, v[7:8]
	;; [unrolled: 2-line block ×3, first 2 shown]
	v_cndmask_b32_e32 v7, 0, v52, vcc
	v_add_u32_e32 v9, v7, v43
	v_mov_b32_e32 v7, v49
	v_mad_u64_u32 v[49:50], s[16:17], v39, s71, v[7:8]
	v_cmp_lt_u32_e64 s[16:17], 31, v9
	v_cndmask_b32_e64 v7, 0, v22, s[16:17]
	v_add_u32_e32 v9, v7, v9
	v_mov_b32_e32 v7, v50
	v_mad_u64_u32 v[58:59], s[18:19], v39, s72, v[7:8]
	v_cmp_lt_u32_e64 s[18:19], 31, v9
	v_cndmask_b32_e64 v7, 0, v22, s[18:19]
	v_add_u32_e32 v9, v7, v9
	v_mov_b32_e32 v7, v59
	v_mad_u64_u32 v[59:60], s[20:21], v39, s73, v[7:8]
	v_cndmask_b32_e32 v7, v49, v47, vcc
	v_cndmask_b32_e32 v26, v58, v48, vcc
	;; [unrolled: 1-line block ×4, first 2 shown]
	v_cndmask_b32_e64 v34, v26, v7, s[16:17]
	v_cndmask_b32_e64 v26, v38, v26, s[16:17]
	v_cndmask_b32_e64 v38, v42, v38, s[16:17]
	v_cndmask_b32_e32 v25, v48, v25, vcc
	v_cndmask_b32_e64 v38, v38, v26, s[18:19]
	v_cndmask_b32_e64 v26, v26, v34, s[18:19]
	v_sub_u32_e32 v42, 32, v9
	v_cndmask_b32_e64 v7, v7, v25, s[16:17]
	v_alignbit_b32 v45, v38, v26, v42
	v_cmp_eq_u32_e64 s[20:21], 0, v9
	v_cndmask_b32_e64 v34, v34, v7, s[18:19]
	v_cndmask_b32_e32 v24, v47, v24, vcc
	v_cndmask_b32_e64 v9, v45, v38, s[20:21]
	v_alignbit_b32 v38, v26, v34, v42
	v_cndmask_b32_e64 v24, v25, v24, s[16:17]
	v_cndmask_b32_e64 v26, v38, v26, s[20:21]
	v_bfe_u32 v48, v9, 29, 1
	v_cndmask_b32_e64 v7, v7, v24, s[18:19]
	v_alignbit_b32 v38, v9, v26, 30
	v_sub_u32_e32 v49, 0, v48
	v_alignbit_b32 v24, v34, v7, v42
	v_xor_b32_e32 v38, v38, v49
	v_cndmask_b32_e64 v24, v24, v34, s[20:21]
	v_alignbit_b32 v25, v26, v24, 30
	v_ffbh_u32_e32 v26, v38
	v_min_u32_e32 v26, 32, v26
	v_alignbit_b32 v7, v24, v7, 30
	v_xor_b32_e32 v25, v25, v49
	v_sub_u32_e32 v34, 31, v26
	v_xor_b32_e32 v7, v7, v49
	v_alignbit_b32 v38, v38, v25, v34
	v_alignbit_b32 v7, v25, v7, v34
	v_alignbit_b32 v24, v38, v7, 9
	v_ffbh_u32_e32 v25, v24
	v_min_u32_e32 v25, 32, v25
	v_lshrrev_b32_e32 v45, 29, v9
	v_not_b32_e32 v34, v25
	v_alignbit_b32 v7, v24, v7, v34
	v_lshlrev_b32_e32 v24, 31, v45
	v_or_b32_e32 v34, 0x33000000, v24
	v_add_lshl_u32 v25, v25, v26, 23
	v_lshrrev_b32_e32 v7, 9, v7
	v_sub_u32_e32 v25, v34, v25
	v_or_b32_e32 v24, 0.5, v24
	v_lshlrev_b32_e32 v26, 23, v26
	v_or_b32_e32 v7, v25, v7
	v_lshrrev_b32_e32 v25, 9, v38
	v_sub_u32_e32 v24, v24, v26
	v_or_b32_e32 v24, v25, v24
	v_mul_f32_e32 v25, 0x3fc90fda, v24
	v_fma_f32 v26, v24, s74, -v25
	v_fmac_f32_e32 v26, 0x33a22168, v24
	v_fmac_f32_e32 v26, 0x3fc90fda, v7
	v_lshrrev_b32_e32 v7, 30, v9
	v_add_f32_e32 v26, v25, v26
	v_add_u32_e32 v9, v48, v7
.LBB0_105:                              ;   in Loop: Header=BB0_28 Depth=1
	s_or_saveexec_b64 s[16:17], s[44:45]
	v_mul_f32_e64 v7, |v1|, s75
	v_rndne_f32_e32 v49, v7
	s_xor_b64 exec, exec, s[16:17]
; %bb.106:                              ;   in Loop: Header=BB0_28 Depth=1
	v_cvt_i32_f32_e32 v9, v49
	v_fma_f32 v26, v49, s76, |v1|
	v_fmac_f32_e32 v26, 0xb3a22168, v49
	v_fmac_f32_e32 v26, 0xa7c234c4, v49
; %bb.107:                              ;   in Loop: Header=BB0_28 Depth=1
	s_or_b64 exec, exec, s[16:17]
                                        ; implicit-def: $vgpr7
                                        ; implicit-def: $vgpr45
	s_and_saveexec_b64 s[16:17], s[42:43]
	s_xor_b64 s[42:43], exec, s[16:17]
	s_cbranch_execz .LBB0_109
; %bb.108:                              ;   in Loop: Header=BB0_28 Depth=1
	v_mad_u64_u32 v[24:25], s[16:17], v39, s67, 0
	v_cmp_lt_u32_e32 vcc, 63, v43
	v_mov_b32_e32 v7, v25
	v_mad_u64_u32 v[47:48], s[16:17], v39, s68, v[7:8]
	v_mov_b32_e32 v7, v48
	v_mad_u64_u32 v[48:49], s[16:17], v39, s69, v[7:8]
	;; [unrolled: 2-line block ×3, first 2 shown]
	v_cndmask_b32_e32 v7, 0, v52, vcc
	v_add_u32_e32 v25, v7, v43
	v_mov_b32_e32 v7, v50
	v_mad_u64_u32 v[42:43], s[16:17], v39, s71, v[7:8]
	v_cmp_lt_u32_e64 s[16:17], 31, v25
	v_cndmask_b32_e64 v7, 0, v22, s[16:17]
	v_add_u32_e32 v25, v7, v25
	v_mov_b32_e32 v7, v43
	v_mad_u64_u32 v[58:59], s[18:19], v39, s72, v[7:8]
	v_cmp_lt_u32_e64 s[18:19], 31, v25
	v_cndmask_b32_e64 v7, 0, v22, s[18:19]
	v_add_u32_e32 v25, v7, v25
	v_mov_b32_e32 v7, v59
	v_mad_u64_u32 v[38:39], s[20:21], v39, s73, v[7:8]
	v_cndmask_b32_e32 v7, v42, v48, vcc
	v_cndmask_b32_e32 v34, v58, v49, vcc
	;; [unrolled: 1-line block ×4, first 2 shown]
	v_cndmask_b32_e64 v43, v34, v7, s[16:17]
	v_cndmask_b32_e64 v34, v38, v34, s[16:17]
	;; [unrolled: 1-line block ×5, first 2 shown]
	v_sub_u32_e32 v39, 32, v25
	v_alignbit_b32 v42, v38, v34, v39
	v_cmp_eq_u32_e64 s[20:21], 0, v25
	v_cndmask_b32_e64 v25, v42, v38, s[20:21]
	v_cndmask_b32_e32 v38, v49, v47, vcc
	v_cndmask_b32_e64 v7, v7, v38, s[16:17]
	v_cndmask_b32_e64 v42, v43, v7, s[18:19]
	v_alignbit_b32 v43, v34, v42, v39
	v_cndmask_b32_e32 v24, v48, v24, vcc
	v_cndmask_b32_e64 v34, v43, v34, s[20:21]
	v_bfe_u32 v47, v25, 29, 1
	v_cndmask_b32_e64 v24, v38, v24, s[16:17]
	v_alignbit_b32 v43, v25, v34, 30
	v_sub_u32_e32 v49, 0, v47
	v_cndmask_b32_e64 v7, v7, v24, s[18:19]
	v_xor_b32_e32 v43, v43, v49
	v_alignbit_b32 v24, v42, v7, v39
	v_cndmask_b32_e64 v24, v24, v42, s[20:21]
	v_ffbh_u32_e32 v38, v43
	v_alignbit_b32 v34, v34, v24, 30
	v_min_u32_e32 v38, 32, v38
	v_alignbit_b32 v7, v24, v7, 30
	v_xor_b32_e32 v34, v34, v49
	v_sub_u32_e32 v39, 31, v38
	v_xor_b32_e32 v7, v7, v49
	v_alignbit_b32 v42, v43, v34, v39
	v_alignbit_b32 v7, v34, v7, v39
	;; [unrolled: 1-line block ×3, first 2 shown]
	v_ffbh_u32_e32 v34, v24
	v_min_u32_e32 v34, 32, v34
	v_lshrrev_b32_e32 v45, 29, v25
	v_not_b32_e32 v39, v34
	v_alignbit_b32 v7, v24, v7, v39
	v_lshlrev_b32_e32 v24, 31, v45
	v_or_b32_e32 v39, 0x33000000, v24
	v_add_lshl_u32 v34, v34, v38, 23
	v_lshrrev_b32_e32 v7, 9, v7
	v_sub_u32_e32 v34, v39, v34
	v_or_b32_e32 v24, 0.5, v24
	v_lshlrev_b32_e32 v38, 23, v38
	v_or_b32_e32 v7, v34, v7
	v_lshrrev_b32_e32 v34, 9, v42
	v_sub_u32_e32 v24, v24, v38
	v_or_b32_e32 v24, v34, v24
	v_mul_f32_e32 v34, 0x3fc90fda, v24
	v_fma_f32 v38, v24, s74, -v34
	v_fmac_f32_e32 v38, 0x33a22168, v24
	v_fmac_f32_e32 v38, 0x3fc90fda, v7
	v_lshrrev_b32_e32 v7, 30, v25
	v_add_f32_e32 v45, v34, v38
	v_add_u32_e32 v7, v47, v7
                                        ; implicit-def: $vgpr49
	s_andn2_saveexec_b64 s[16:17], s[42:43]
	s_cbranch_execnz .LBB0_110
	s_branch .LBB0_111
.LBB0_109:                              ;   in Loop: Header=BB0_28 Depth=1
	s_andn2_saveexec_b64 s[16:17], s[42:43]
.LBB0_110:                              ;   in Loop: Header=BB0_28 Depth=1
	v_cvt_i32_f32_e32 v7, v49
	v_fma_f32 v45, v49, s76, |v1|
	v_fmac_f32_e32 v45, 0xb3a22168, v49
	v_fmac_f32_e32 v45, 0xa7c234c4, v49
.LBB0_111:                              ;   in Loop: Header=BB0_28 Depth=1
	s_or_b64 exec, exec, s[16:17]
	v_mul_f32_e32 v24, v26, v26
	v_mov_b32_e32 v25, 0x3c0881c4
	v_fmac_f32_e32 v25, 0xb94c1982, v24
	v_fma_f32 v25, v24, v25, v61
	v_mul_f32_e32 v25, v24, v25
	v_fmac_f32_e32 v26, v26, v25
	v_mov_b32_e32 v25, 0xbab64f3b
	v_fmac_f32_e32 v25, 0x37d75334, v24
	v_mov_b32_e32 v34, 0x3d2aabf7
	v_fma_f32 v25, v24, v25, v34
	v_fma_f32 v25, v24, v25, v41
	v_fma_f32 v24, v24, v25, 1.0
	v_and_b32_e32 v25, 1, v9
	v_cmp_eq_u32_e32 vcc, 0, v25
	v_lshlrev_b32_e32 v9, 30, v9
	v_cndmask_b32_e64 v24, -v26, v24, vcc
	v_and_b32_e32 v9, 0x80000000, v9
	v_xor_b32_e32 v9, v9, v24
	v_mul_f32_e32 v24, v45, v45
	v_mov_b32_e32 v25, 0x3c0881c4
	v_fmac_f32_e32 v25, 0xb94c1982, v24
	v_fma_f32 v25, v24, v25, v61
	v_mul_f32_e32 v25, v24, v25
	v_fmac_f32_e32 v45, v45, v25
	v_mov_b32_e32 v25, 0xbab64f3b
	v_fmac_f32_e32 v25, 0x37d75334, v24
	v_fma_f32 v25, v24, v25, v34
	v_fma_f32 v25, v24, v25, v41
	v_fma_f32 v24, v24, v25, 1.0
	v_and_b32_e32 v25, 1, v7
	v_lshlrev_b32_e32 v7, 30, v7
	v_cmp_class_f32_e64 vcc, v1, s77
	v_cmp_eq_u32_e64 s[16:17], 0, v25
	v_and_b32_e32 v7, 0x80000000, v7
	v_xor_b32_e32 v1, v23, v1
	v_cndmask_b32_e64 v24, v24, v45, s[16:17]
	v_xor_b32_e32 v1, v1, v7
	v_xor_b32_e32 v1, v1, v24
	v_cndmask_b32_e32 v9, v27, v9, vcc
	v_cndmask_b32_e32 v1, v27, v1, vcc
	s_waitcnt vmcnt(0)
	v_mul_f32_e32 v9, v0, v9
	v_mov_b32_e32 v53, 0x3d2aabf7
	v_mul_f32_e32 v23, v0, v1
.LBB0_112:                              ;   in Loop: Header=BB0_28 Depth=1
	s_or_b64 exec, exec, s[40:41]
.LBB0_113:                              ;   in Loop: Header=BB0_28 Depth=1
	s_or_b64 exec, exec, s[34:35]
.LBB0_114:                              ;   in Loop: Header=BB0_28 Depth=1
	s_or_b64 exec, exec, s[30:31]
.LBB0_115:                              ;   in Loop: Header=BB0_28 Depth=1
	s_or_b64 exec, exec, s[28:29]
                                        ; implicit-def: $vgpr0
.LBB0_116:                              ;   in Loop: Header=BB0_28 Depth=1
	s_andn2_saveexec_b64 s[26:27], s[26:27]
	s_cbranch_execz .LBB0_174
; %bb.117:                              ;   in Loop: Header=BB0_28 Depth=1
	v_cmp_lt_i32_e32 vcc, 21, v0
	s_and_saveexec_b64 s[16:17], vcc
	s_xor_b64 s[28:29], exec, s[16:17]
	s_cbranch_execz .LBB0_155
; %bb.118:                              ;   in Loop: Header=BB0_28 Depth=1
	v_cmp_lt_i32_e32 vcc, 27, v0
	s_and_saveexec_b64 s[16:17], vcc
	s_xor_b64 s[30:31], exec, s[16:17]
	;; [unrolled: 5-line block ×4, first 2 shown]
	s_cbranch_execz .LBB0_132
; %bb.121:                              ;   in Loop: Header=BB0_28 Depth=1
	v_cmp_eq_u32_e32 vcc, 31, v0
	s_and_saveexec_b64 s[42:43], vcc
	s_cbranch_execz .LBB0_131
; %bb.122:                              ;   in Loop: Header=BB0_28 Depth=1
	global_load_dword v0, v[62:63], off
	buffer_load_dword v24, off, s[88:91], 0 offset:212 ; 4-byte Folded Reload
	buffer_load_dword v25, off, s[88:91], 0 offset:216 ; 4-byte Folded Reload
                                        ; implicit-def: $vgpr39
                                        ; implicit-def: $vgpr43
	s_waitcnt vmcnt(2)
	v_add_f32_e32 v0, v0, v0
	s_waitcnt vmcnt(0)
	global_load_dword v26, v[24:25], off
	v_mul_f32_e32 v0, 0x40490fdb, v0
	v_and_b32_e32 v1, 0x7fffffff, v0
	v_lshrrev_b32_e32 v7, 23, v1
	v_and_b32_e32 v24, 0x7fffff, v1
	v_cmp_nlt_f32_e64 s[44:45], |v0|, s33
	v_add_u32_e32 v49, 0xffffff88, v7
	v_or_b32_e32 v45, 0x800000, v24
	s_and_saveexec_b64 s[16:17], s[44:45]
	s_xor_b64 s[46:47], exec, s[16:17]
	s_cbranch_execz .LBB0_124
; %bb.123:                              ;   in Loop: Header=BB0_28 Depth=1
	v_mad_u64_u32 v[24:25], s[16:17], v45, s67, 0
	v_cmp_lt_u32_e32 vcc, 63, v49
	v_mov_b32_e32 v7, v25
	v_mad_u64_u32 v[58:59], s[16:17], v45, s68, v[7:8]
	v_mov_b32_e32 v7, v59
	v_mad_u64_u32 v[59:60], s[16:17], v45, s69, v[7:8]
	;; [unrolled: 2-line block ×3, first 2 shown]
	v_cndmask_b32_e32 v7, 0, v52, vcc
	v_add_u32_e32 v25, v7, v49
	v_mov_b32_e32 v7, v61
	v_mad_u64_u32 v[47:48], s[16:17], v45, s71, v[7:8]
	v_cmp_lt_u32_e64 s[16:17], 31, v25
	v_cndmask_b32_e64 v7, 0, v22, s[16:17]
	v_add_u32_e32 v25, v7, v25
	v_mov_b32_e32 v7, v48
	v_mad_u64_u32 v[38:39], s[18:19], v45, s72, v[7:8]
	v_cmp_lt_u32_e64 s[18:19], 31, v25
	v_cndmask_b32_e64 v7, 0, v22, s[18:19]
	v_add_u32_e32 v25, v7, v25
	v_mov_b32_e32 v7, v39
	v_mad_u64_u32 v[42:43], s[20:21], v45, s73, v[7:8]
	v_cndmask_b32_e32 v7, v47, v59, vcc
	v_cndmask_b32_e32 v34, v38, v60, vcc
	;; [unrolled: 1-line block ×4, first 2 shown]
	v_cndmask_b32_e64 v39, v34, v7, s[16:17]
	v_cndmask_b32_e64 v34, v42, v34, s[16:17]
	;; [unrolled: 1-line block ×5, first 2 shown]
	v_sub_u32_e32 v42, 32, v25
	v_alignbit_b32 v43, v38, v34, v42
	v_cmp_eq_u32_e64 s[20:21], 0, v25
	v_cndmask_b32_e64 v25, v43, v38, s[20:21]
	v_cndmask_b32_e32 v38, v60, v58, vcc
	v_cndmask_b32_e64 v7, v7, v38, s[16:17]
	v_cndmask_b32_e64 v39, v39, v7, s[18:19]
	v_alignbit_b32 v43, v34, v39, v42
	v_cndmask_b32_e32 v24, v59, v24, vcc
	v_cndmask_b32_e64 v34, v43, v34, s[20:21]
	v_bfe_u32 v48, v25, 29, 1
	v_cndmask_b32_e64 v24, v38, v24, s[16:17]
	v_alignbit_b32 v43, v25, v34, 30
	v_sub_u32_e32 v50, 0, v48
	v_cndmask_b32_e64 v7, v7, v24, s[18:19]
	v_xor_b32_e32 v43, v43, v50
	v_alignbit_b32 v24, v39, v7, v42
	v_cndmask_b32_e64 v24, v24, v39, s[20:21]
	v_ffbh_u32_e32 v38, v43
	v_alignbit_b32 v34, v34, v24, 30
	v_min_u32_e32 v38, 32, v38
	v_alignbit_b32 v7, v24, v7, 30
	v_xor_b32_e32 v34, v34, v50
	v_sub_u32_e32 v39, 31, v38
	v_xor_b32_e32 v7, v7, v50
	v_alignbit_b32 v42, v43, v34, v39
	v_alignbit_b32 v7, v34, v7, v39
	;; [unrolled: 1-line block ×3, first 2 shown]
	v_ffbh_u32_e32 v34, v24
	v_min_u32_e32 v34, 32, v34
	v_lshrrev_b32_e32 v47, 29, v25
	v_not_b32_e32 v39, v34
	v_alignbit_b32 v7, v24, v7, v39
	v_lshlrev_b32_e32 v24, 31, v47
	v_or_b32_e32 v39, 0x33000000, v24
	v_add_lshl_u32 v34, v34, v38, 23
	v_lshrrev_b32_e32 v7, 9, v7
	v_sub_u32_e32 v34, v39, v34
	v_or_b32_e32 v24, 0.5, v24
	v_lshlrev_b32_e32 v38, 23, v38
	v_or_b32_e32 v7, v34, v7
	v_lshrrev_b32_e32 v34, 9, v42
	v_sub_u32_e32 v24, v24, v38
	v_or_b32_e32 v24, v34, v24
	v_mul_f32_e32 v34, 0x3fc90fda, v24
	v_fma_f32 v38, v24, s74, -v34
	v_fmac_f32_e32 v38, 0x33a22168, v24
	v_fmac_f32_e32 v38, 0x3fc90fda, v7
	v_lshrrev_b32_e32 v7, 30, v25
	v_add_f32_e32 v43, v34, v38
	v_add_u32_e32 v39, v48, v7
.LBB0_124:                              ;   in Loop: Header=BB0_28 Depth=1
	s_or_saveexec_b64 s[16:17], s[46:47]
	v_mul_f32_e64 v7, |v0|, s75
	v_rndne_f32_e32 v53, v7
	s_xor_b64 exec, exec, s[16:17]
; %bb.125:                              ;   in Loop: Header=BB0_28 Depth=1
	v_cvt_i32_f32_e32 v39, v53
	v_fma_f32 v43, v53, s76, |v0|
	v_fmac_f32_e32 v43, 0xb3a22168, v53
	v_fmac_f32_e32 v43, 0xa7c234c4, v53
; %bb.126:                              ;   in Loop: Header=BB0_28 Depth=1
	s_or_b64 exec, exec, s[16:17]
                                        ; implicit-def: $vgpr7
                                        ; implicit-def: $vgpr50
	s_and_saveexec_b64 s[16:17], s[44:45]
	s_xor_b64 s[44:45], exec, s[16:17]
	s_cbranch_execz .LBB0_128
; %bb.127:                              ;   in Loop: Header=BB0_28 Depth=1
	v_mad_u64_u32 v[24:25], s[16:17], v45, s67, 0
	v_cmp_lt_u32_e32 vcc, 63, v49
                                        ; implicit-def: $vgpr53
	v_mov_b32_e32 v7, v25
	v_mad_u64_u32 v[47:48], s[16:17], v45, s68, v[7:8]
	v_mov_b32_e32 v7, v48
	v_mad_u64_u32 v[58:59], s[16:17], v45, s69, v[7:8]
	;; [unrolled: 2-line block ×3, first 2 shown]
	v_cndmask_b32_e32 v7, 0, v52, vcc
	v_add_u32_e32 v25, v7, v49
	v_mov_b32_e32 v7, v60
	v_mad_u64_u32 v[48:49], s[16:17], v45, s71, v[7:8]
	v_cmp_lt_u32_e64 s[16:17], 31, v25
	v_cndmask_b32_e64 v7, 0, v22, s[16:17]
	v_add_u32_e32 v25, v7, v25
	v_mov_b32_e32 v7, v49
	v_mad_u64_u32 v[49:50], s[18:19], v45, s72, v[7:8]
	v_cmp_lt_u32_e64 s[18:19], 31, v25
	v_cndmask_b32_e64 v7, 0, v22, s[18:19]
	v_add_u32_e32 v25, v7, v25
	v_mov_b32_e32 v7, v50
	v_mad_u64_u32 v[60:61], s[20:21], v45, s73, v[7:8]
	v_cndmask_b32_e32 v7, v48, v58, vcc
	v_cndmask_b32_e32 v34, v49, v59, vcc
	;; [unrolled: 1-line block ×4, first 2 shown]
	v_cndmask_b32_e64 v38, v34, v7, s[16:17]
	v_cndmask_b32_e64 v34, v42, v34, s[16:17]
	;; [unrolled: 1-line block ×5, first 2 shown]
	v_sub_u32_e32 v45, 32, v25
	v_alignbit_b32 v48, v42, v34, v45
	v_cmp_eq_u32_e64 s[20:21], 0, v25
	v_cndmask_b32_e64 v25, v48, v42, s[20:21]
	v_cndmask_b32_e32 v42, v59, v47, vcc
	v_cndmask_b32_e64 v7, v7, v42, s[16:17]
	v_cndmask_b32_e64 v38, v38, v7, s[18:19]
	v_alignbit_b32 v47, v34, v38, v45
	v_cndmask_b32_e32 v24, v58, v24, vcc
	v_cndmask_b32_e64 v34, v47, v34, s[20:21]
	v_bfe_u32 v49, v25, 29, 1
	v_cndmask_b32_e64 v24, v42, v24, s[16:17]
	v_alignbit_b32 v47, v25, v34, 30
	v_sub_u32_e32 v50, 0, v49
	v_cndmask_b32_e64 v7, v7, v24, s[18:19]
	v_xor_b32_e32 v47, v47, v50
	v_alignbit_b32 v24, v38, v7, v45
	v_cndmask_b32_e64 v24, v24, v38, s[20:21]
	v_ffbh_u32_e32 v38, v47
	v_alignbit_b32 v34, v34, v24, 30
	v_min_u32_e32 v38, 32, v38
	v_alignbit_b32 v7, v24, v7, 30
	v_xor_b32_e32 v34, v34, v50
	v_sub_u32_e32 v42, 31, v38
	v_xor_b32_e32 v7, v7, v50
	v_alignbit_b32 v45, v47, v34, v42
	v_alignbit_b32 v7, v34, v7, v42
	;; [unrolled: 1-line block ×3, first 2 shown]
	v_ffbh_u32_e32 v34, v24
	v_min_u32_e32 v34, 32, v34
	v_lshrrev_b32_e32 v48, 29, v25
	v_not_b32_e32 v42, v34
	v_alignbit_b32 v7, v24, v7, v42
	v_lshlrev_b32_e32 v24, 31, v48
	v_or_b32_e32 v42, 0x33000000, v24
	v_add_lshl_u32 v34, v34, v38, 23
	v_lshrrev_b32_e32 v7, 9, v7
	v_sub_u32_e32 v34, v42, v34
	v_or_b32_e32 v24, 0.5, v24
	v_lshlrev_b32_e32 v38, 23, v38
	v_or_b32_e32 v7, v34, v7
	v_lshrrev_b32_e32 v34, 9, v45
	v_sub_u32_e32 v24, v24, v38
	v_or_b32_e32 v24, v34, v24
	v_mul_f32_e32 v34, 0x3fc90fda, v24
	v_fma_f32 v38, v24, s74, -v34
	v_fmac_f32_e32 v38, 0x33a22168, v24
	v_fmac_f32_e32 v38, 0x3fc90fda, v7
	v_lshrrev_b32_e32 v7, 30, v25
	v_add_f32_e32 v50, v34, v38
	v_add_u32_e32 v7, v49, v7
	s_or_saveexec_b64 s[16:17], s[44:45]
	v_mov_b32_e32 v61, 0xbe2aaa9d
	s_xor_b64 exec, exec, s[16:17]
	s_cbranch_execnz .LBB0_129
	s_branch .LBB0_130
.LBB0_128:                              ;   in Loop: Header=BB0_28 Depth=1
	s_or_saveexec_b64 s[16:17], s[44:45]
	v_mov_b32_e32 v61, 0xbe2aaa9d
	s_xor_b64 exec, exec, s[16:17]
.LBB0_129:                              ;   in Loop: Header=BB0_28 Depth=1
	v_cvt_i32_f32_e32 v7, v53
	v_fma_f32 v50, v53, s76, |v0|
	v_fmac_f32_e32 v50, 0xb3a22168, v53
	v_fmac_f32_e32 v50, 0xa7c234c4, v53
.LBB0_130:                              ;   in Loop: Header=BB0_28 Depth=1
	s_or_b64 exec, exec, s[16:17]
	v_mul_f32_e32 v24, v43, v43
	v_mov_b32_e32 v25, 0x3c0881c4
	v_fmac_f32_e32 v25, 0xb94c1982, v24
	v_fma_f32 v25, v24, v25, v61
	v_mul_f32_e32 v25, v24, v25
	v_fmac_f32_e32 v43, v43, v25
	v_mov_b32_e32 v25, 0xbab64f3b
	v_fmac_f32_e32 v25, 0x37d75334, v24
	v_mov_b32_e32 v34, 0x3d2aabf7
	v_fma_f32 v25, v24, v25, v34
	v_fma_f32 v25, v24, v25, v41
	v_fma_f32 v24, v24, v25, 1.0
	v_and_b32_e32 v25, 1, v39
	v_cmp_eq_u32_e32 vcc, 0, v25
	v_lshlrev_b32_e32 v25, 30, v39
	v_cndmask_b32_e64 v24, -v43, v24, vcc
	v_and_b32_e32 v25, 0x80000000, v25
	v_xor_b32_e32 v24, v25, v24
	v_cmp_class_f32_e64 vcc, v0, s77
	s_waitcnt vmcnt(0)
	v_mul_f32_e32 v9, v9, v26
	v_cndmask_b32_e32 v24, v27, v24, vcc
	v_mul_f32_e32 v9, v9, v24
	v_mul_f32_e32 v24, v50, v50
	v_mov_b32_e32 v25, 0x3c0881c4
	v_fmac_f32_e32 v25, 0xb94c1982, v24
	v_fma_f32 v25, v24, v25, v61
	v_mul_f32_e32 v25, v24, v25
	v_fmac_f32_e32 v50, v50, v25
	v_mov_b32_e32 v25, 0xbab64f3b
	v_fmac_f32_e32 v25, 0x37d75334, v24
	v_fma_f32 v25, v24, v25, v34
	v_fma_f32 v25, v24, v25, v41
	v_fma_f32 v24, v24, v25, 1.0
	v_and_b32_e32 v25, 1, v7
	v_lshlrev_b32_e32 v7, 30, v7
	v_cmp_eq_u32_e64 s[16:17], 0, v25
	v_and_b32_e32 v7, 0x80000000, v7
	v_xor_b32_e32 v0, v1, v0
	v_cndmask_b32_e64 v24, v24, v50, s[16:17]
	v_xor_b32_e32 v0, v0, v7
	v_xor_b32_e32 v0, v0, v24
	v_mul_f32_e32 v23, v23, v26
	v_cndmask_b32_e32 v0, v27, v0, vcc
	v_mov_b32_e32 v53, 0x3d2aabf7
	v_mul_f32_e32 v23, v23, v0
.LBB0_131:                              ;   in Loop: Header=BB0_28 Depth=1
	s_or_b64 exec, exec, s[42:43]
                                        ; implicit-def: $vgpr0
.LBB0_132:                              ;   in Loop: Header=BB0_28 Depth=1
	s_andn2_saveexec_b64 s[16:17], s[40:41]
	s_cbranch_execz .LBB0_136
; %bb.133:                              ;   in Loop: Header=BB0_28 Depth=1
	v_cmp_eq_u32_e32 vcc, 29, v0
	s_and_saveexec_b64 s[18:19], vcc
	s_cbranch_execz .LBB0_135
; %bb.134:                              ;   in Loop: Header=BB0_28 Depth=1
	s_waitcnt vmcnt(1)
	v_mov_b32_e32 v23, v19
	s_waitcnt vmcnt(0)
	v_mov_b32_e32 v9, v57
.LBB0_135:                              ;   in Loop: Header=BB0_28 Depth=1
	s_or_b64 exec, exec, s[18:19]
.LBB0_136:                              ;   in Loop: Header=BB0_28 Depth=1
	s_or_b64 exec, exec, s[16:17]
.LBB0_137:                              ;   in Loop: Header=BB0_28 Depth=1
	s_andn2_saveexec_b64 s[16:17], s[34:35]
	s_cbranch_execz .LBB0_139
; %bb.138:                              ;   in Loop: Header=BB0_28 Depth=1
	buffer_load_dword v23, off, s[88:91], 0 offset:224 ; 4-byte Folded Reload
	buffer_load_dword v9, off, s[88:91], 0 offset:220 ; 4-byte Folded Reload
.LBB0_139:                              ;   in Loop: Header=BB0_28 Depth=1
	s_or_b64 exec, exec, s[16:17]
                                        ; implicit-def: $vgpr0
.LBB0_140:                              ;   in Loop: Header=BB0_28 Depth=1
	s_andn2_saveexec_b64 s[16:17], s[30:31]
	s_cbranch_execz .LBB0_154
; %bb.141:                              ;   in Loop: Header=BB0_28 Depth=1
	v_cmp_lt_i32_e32 vcc, 26, v0
	s_and_saveexec_b64 s[18:19], vcc
	s_xor_b64 s[18:19], exec, s[18:19]
; %bb.142:                              ;   in Loop: Header=BB0_28 Depth=1
                                        ; implicit-def: $vgpr23
                                        ; implicit-def: $vgpr9
                                        ; implicit-def: $vgpr0
; %bb.143:                              ;   in Loop: Header=BB0_28 Depth=1
	s_or_saveexec_b64 s[18:19], s[18:19]
	buffer_load_dword v1, off, s[88:91], 0 offset:12 ; 4-byte Folded Reload
	buffer_load_dword v7, off, s[88:91], 0 offset:8 ; 4-byte Folded Reload
	s_xor_b64 exec, exec, s[18:19]
	s_cbranch_execz .LBB0_153
; %bb.144:                              ;   in Loop: Header=BB0_28 Depth=1
	v_cmp_eq_u32_e32 vcc, 22, v0
	s_and_saveexec_b64 s[20:21], vcc
	s_cbranch_execz .LBB0_152
; %bb.145:                              ;   in Loop: Header=BB0_28 Depth=1
	buffer_load_dword v0, off, s[88:91], 0 offset:172 ; 4-byte Folded Reload
	s_and_saveexec_b64 s[30:31], s[36:37]
	s_cbranch_execz .LBB0_151
; %bb.146:                              ;   in Loop: Header=BB0_28 Depth=1
	buffer_load_dword v0, off, s[88:91], 0 offset:192 ; 4-byte Folded Reload
	s_waitcnt vmcnt(3)
	v_mov_b32_e32 v1, v10
	s_and_saveexec_b64 s[34:35], s[0:1]
	s_cbranch_execz .LBB0_150
; %bb.147:                              ;   in Loop: Header=BB0_28 Depth=1
	buffer_load_dword v0, off, s[88:91], 0 offset:192 ; 4-byte Folded Reload
	s_mov_b64 s[40:41], 0
	v_mov_b32_e32 v1, v10
.LBB0_148:                              ;   Parent Loop BB0_28 Depth=1
                                        ; =>  This Inner Loop Header: Depth=2
	s_waitcnt vmcnt(0)
	v_mul_f32_e32 v7, v30, v0
	v_rndne_f32_e32 v7, v7
	v_fma_f32 v0, -v7, v18, v0
	v_add_f32_e32 v7, v18, v0
	v_cmp_gt_f32_e32 vcc, 0, v0
	v_cndmask_b32_e32 v0, v0, v7, vcc
	v_cmp_gt_u32_e32 vcc, 25, v1
	v_ldexp_f32 v0, v0, 12
	s_or_b64 s[40:41], vcc, s[40:41]
	v_add_u32_e32 v1, -12, v1
	s_andn2_b64 exec, exec, s[40:41]
	s_cbranch_execnz .LBB0_148
; %bb.149:                              ;   in Loop: Header=BB0_28 Depth=1
	s_or_b64 exec, exec, s[40:41]
.LBB0_150:                              ;   in Loop: Header=BB0_28 Depth=1
	s_or_b64 exec, exec, s[34:35]
	v_add_u32_e32 v1, -11, v1
	s_waitcnt vmcnt(0)
	v_ldexp_f32 v0, v0, v1
	v_mul_f32_e32 v1, v30, v0
	v_rndne_f32_e32 v1, v1
	v_fma_f32 v0, -v1, v18, v0
	v_add_f32_e32 v1, v18, v0
	v_cmp_gt_f32_e32 vcc, 0, v0
	v_cndmask_b32_e32 v0, v0, v1, vcc
	buffer_load_dword v1, off, s[88:91], 0 offset:196 ; 4-byte Folded Reload
	s_waitcnt vmcnt(0)
	v_ldexp_f32 v0, v0, v1
	buffer_load_dword v1, off, s[88:91], 0 offset:200 ; 4-byte Folded Reload
	s_waitcnt vmcnt(0)
	v_xor_b32_e32 v0, v1, v0
.LBB0_151:                              ;   in Loop: Header=BB0_28 Depth=1
	s_or_b64 exec, exec, s[30:31]
	buffer_load_dword v1, off, s[88:91], 0 offset:176 ; 4-byte Folded Reload
	s_waitcnt vmcnt(1)
	v_cndmask_b32_e64 v0, v0, v27, s[2:3]
	v_cndmask_b32_e64 v0, v27, v0, s[4:5]
	v_and_b32_e32 v24, 0x7fffffff, v28
	v_and_b32_e32 v25, 0x7fffffff, v54
	v_cndmask_b32_e64 v26, 0, 1, s[6:7]
	s_waitcnt vmcnt(0)
	v_cmp_gt_f32_e32 vcc, v0, v1
	v_cndmask_b32_e32 v24, v24, v25, vcc
	v_cndmask_b32_e64 v25, 0, 1, s[8:9]
	v_cndmask_b32_e32 v25, v26, v25, vcc
	buffer_load_dword v26, off, s[88:91], 0 offset:188 ; 4-byte Folded Reload
	v_cndmask_b32_e32 v0, v15, v4, vcc
	v_cndmask_b32_e32 v1, v5, v29, vcc
	;; [unrolled: 1-line block ×5, first 2 shown]
	v_xor_b32_e32 v0, v0, v23
	v_and_b32_e32 v25, 1, v25
	v_xor_b32_e32 v0, v0, v24
	s_waitcnt vmcnt(0)
	v_cndmask_b32_e32 v26, v26, v16, vcc
	v_cmp_eq_u32_e32 vcc, 0, v1
	v_cndmask_b32_e32 v1, v7, v9, vcc
	v_xor_b32_e32 v0, v0, v1
	v_cmp_eq_u32_e32 vcc, 1, v25
	v_cndmask_b32_e32 v0, v27, v0, vcc
	v_mul_f32_e32 v23, v20, v0
	v_mul_f32_e32 v9, v20, v26
.LBB0_152:                              ;   in Loop: Header=BB0_28 Depth=1
	s_or_b64 exec, exec, s[20:21]
	s_waitcnt vmcnt(1)
	v_mov_b32_e32 v1, v23
	s_waitcnt vmcnt(0)
	v_mov_b32_e32 v7, v9
.LBB0_153:                              ;   in Loop: Header=BB0_28 Depth=1
	s_or_b64 exec, exec, s[18:19]
	s_waitcnt vmcnt(1)
	v_mov_b32_e32 v23, v1
	s_waitcnt vmcnt(0)
	v_mov_b32_e32 v9, v7
.LBB0_154:                              ;   in Loop: Header=BB0_28 Depth=1
	s_or_b64 exec, exec, s[16:17]
                                        ; implicit-def: $vgpr0
.LBB0_155:                              ;   in Loop: Header=BB0_28 Depth=1
	s_andn2_saveexec_b64 s[16:17], s[28:29]
	s_cbranch_execz .LBB0_173
; %bb.156:                              ;   in Loop: Header=BB0_28 Depth=1
	v_cmp_lt_i32_e32 vcc, 19, v0
                                        ; implicit-def: $vgpr23
                                        ; implicit-def: $vgpr9
	s_and_saveexec_b64 s[18:19], vcc
	s_xor_b64 s[18:19], exec, s[18:19]
	s_cbranch_execz .LBB0_168
; %bb.157:                              ;   in Loop: Header=BB0_28 Depth=1
	v_cmp_lt_i32_e32 vcc, 20, v0
                                        ; implicit-def: $vgpr23
                                        ; implicit-def: $vgpr9
	s_and_saveexec_b64 s[20:21], vcc
	s_xor_b64 s[20:21], exec, s[20:21]
	s_cbranch_execz .LBB0_165
; %bb.158:                              ;   in Loop: Header=BB0_28 Depth=1
	buffer_load_dword v0, off, s[88:91], 0 offset:136 ; 4-byte Folded Reload
	s_and_saveexec_b64 s[28:29], s[38:39]
	s_cbranch_execz .LBB0_164
; %bb.159:                              ;   in Loop: Header=BB0_28 Depth=1
	buffer_load_dword v0, off, s[88:91], 0 offset:156 ; 4-byte Folded Reload
	v_mov_b32_e32 v1, v12
	s_and_saveexec_b64 s[30:31], s[10:11]
	s_cbranch_execz .LBB0_163
; %bb.160:                              ;   in Loop: Header=BB0_28 Depth=1
	buffer_load_dword v0, off, s[88:91], 0 offset:156 ; 4-byte Folded Reload
	s_mov_b64 s[34:35], 0
	v_mov_b32_e32 v1, v12
.LBB0_161:                              ;   Parent Loop BB0_28 Depth=1
                                        ; =>  This Inner Loop Header: Depth=2
	s_waitcnt vmcnt(0)
	v_mul_f32_e32 v7, v40, v0
	v_rndne_f32_e32 v7, v7
	v_fma_f32 v0, -v7, v44, v0
	v_add_f32_e32 v7, v44, v0
	v_cmp_gt_f32_e32 vcc, 0, v0
	v_cndmask_b32_e32 v0, v0, v7, vcc
	v_cmp_gt_u32_e32 vcc, 25, v1
	v_ldexp_f32 v0, v0, 12
	s_or_b64 s[34:35], vcc, s[34:35]
	v_add_u32_e32 v1, -12, v1
	s_andn2_b64 exec, exec, s[34:35]
	s_cbranch_execnz .LBB0_161
; %bb.162:                              ;   in Loop: Header=BB0_28 Depth=1
	s_or_b64 exec, exec, s[34:35]
.LBB0_163:                              ;   in Loop: Header=BB0_28 Depth=1
	s_or_b64 exec, exec, s[30:31]
	v_add_u32_e32 v1, -11, v1
	s_waitcnt vmcnt(0)
	v_ldexp_f32 v0, v0, v1
	v_mul_f32_e32 v1, v40, v0
	v_rndne_f32_e32 v1, v1
	v_fma_f32 v0, -v1, v44, v0
	v_add_f32_e32 v1, v44, v0
	v_cmp_gt_f32_e32 vcc, 0, v0
	v_cndmask_b32_e32 v0, v0, v1, vcc
	buffer_load_dword v1, off, s[88:91], 0 offset:180 ; 4-byte Folded Reload
	s_waitcnt vmcnt(0)
	v_ldexp_f32 v0, v0, v1
	buffer_load_dword v1, off, s[88:91], 0 offset:184 ; 4-byte Folded Reload
	s_waitcnt vmcnt(0)
	v_xor_b32_e32 v0, v1, v0
.LBB0_164:                              ;   in Loop: Header=BB0_28 Depth=1
	s_or_b64 exec, exec, s[28:29]
	buffer_load_dword v1, off, s[88:91], 0 offset:140 ; 4-byte Folded Reload
	s_waitcnt vmcnt(1)
	v_cndmask_b32_e64 v0, v0, v27, s[12:13]
	v_cndmask_b32_e64 v0, v27, v0, s[14:15]
	v_sub_f32_e32 v0, v0, v17
	s_waitcnt vmcnt(0)
	v_add_f32_e32 v0, v1, v0
	buffer_load_dword v1, off, s[88:91], 0 offset:4 ; 4-byte Folded Reload
	s_waitcnt vmcnt(0)
	v_mul_f32_e32 v9, v1, v0
	buffer_load_dword v1, off, s[88:91], 0 offset:100 ; 4-byte Folded Reload
	s_waitcnt vmcnt(0)
	v_mul_f32_e32 v23, v1, v0
.LBB0_165:                              ;   in Loop: Header=BB0_28 Depth=1
	s_andn2_saveexec_b64 s[20:21], s[20:21]
	s_cbranch_execz .LBB0_167
; %bb.166:                              ;   in Loop: Header=BB0_28 Depth=1
	buffer_load_dword v23, off, s[88:91], 0 offset:148 ; 4-byte Folded Reload
	buffer_load_dword v9, off, s[88:91], 0 offset:144 ; 4-byte Folded Reload
.LBB0_167:                              ;   in Loop: Header=BB0_28 Depth=1
	s_or_b64 exec, exec, s[20:21]
                                        ; implicit-def: $vgpr0
.LBB0_168:                              ;   in Loop: Header=BB0_28 Depth=1
	s_andn2_saveexec_b64 s[18:19], s[18:19]
	s_cbranch_execz .LBB0_172
; %bb.169:                              ;   in Loop: Header=BB0_28 Depth=1
	v_cmp_lt_i32_e32 vcc, 18, v0
	s_and_saveexec_b64 s[20:21], vcc
	s_xor_b64 s[20:21], exec, s[20:21]
	s_or_saveexec_b64 s[20:21], s[20:21]
	buffer_load_dword v23, off, s[88:91], 0 offset:44 ; 4-byte Folded Reload
	buffer_load_dword v9, off, s[88:91], 0 offset:40 ; 4-byte Folded Reload
	s_xor_b64 exec, exec, s[20:21]
	s_cbranch_execz .LBB0_171
; %bb.170:                              ;   in Loop: Header=BB0_28 Depth=1
	buffer_load_dword v23, off, s[88:91], 0 offset:168 ; 4-byte Folded Reload
	buffer_load_dword v9, off, s[88:91], 0 offset:152 ; 4-byte Folded Reload
.LBB0_171:                              ;   in Loop: Header=BB0_28 Depth=1
	s_or_b64 exec, exec, s[20:21]
.LBB0_172:                              ;   in Loop: Header=BB0_28 Depth=1
	s_or_b64 exec, exec, s[18:19]
.LBB0_173:                              ;   in Loop: Header=BB0_28 Depth=1
	s_or_b64 exec, exec, s[16:17]
.LBB0_174:                              ;   in Loop: Header=BB0_28 Depth=1
	s_or_b64 exec, exec, s[26:27]
                                        ; implicit-def: $vgpr0
.LBB0_175:                              ;   in Loop: Header=BB0_28 Depth=1
	s_andn2_saveexec_b64 s[24:25], s[24:25]
	s_cbranch_execz .LBB0_26
; %bb.176:                              ;   in Loop: Header=BB0_28 Depth=1
	v_cmp_lt_i32_e32 vcc, 8, v0
                                        ; implicit-def: $vgpr1
                                        ; implicit-def: $vgpr7
	s_and_saveexec_b64 s[16:17], vcc
	s_xor_b64 s[26:27], exec, s[16:17]
	s_cbranch_execz .LBB0_220
; %bb.177:                              ;   in Loop: Header=BB0_28 Depth=1
	v_cmp_lt_i32_e32 vcc, 12, v0
                                        ; implicit-def: $vgpr1
                                        ; implicit-def: $vgpr7
	s_and_saveexec_b64 s[16:17], vcc
	s_xor_b64 s[28:29], exec, s[16:17]
	;; [unrolled: 7-line block ×4, first 2 shown]
	s_cbranch_execz .LBB0_183
; %bb.180:                              ;   in Loop: Header=BB0_28 Depth=1
	v_cmp_lt_i32_e32 vcc, 16, v0
	s_and_saveexec_b64 s[20:21], vcc
	s_xor_b64 s[20:21], exec, s[20:21]
	s_or_saveexec_b64 s[20:21], s[20:21]
	v_mov_b32_e32 v1, v46
	v_mov_b32_e32 v7, v21
	s_xor_b64 exec, exec, s[20:21]
	s_cbranch_execz .LBB0_182
; %bb.181:                              ;   in Loop: Header=BB0_28 Depth=1
	buffer_load_dword v1, off, s[88:91], 0 offset:8 ; 4-byte Folded Reload
	buffer_load_dword v7, off, s[88:91], 0 offset:12 ; 4-byte Folded Reload
.LBB0_182:                              ;   in Loop: Header=BB0_28 Depth=1
	s_or_b64 exec, exec, s[20:21]
.LBB0_183:                              ;   in Loop: Header=BB0_28 Depth=1
	s_andn2_saveexec_b64 s[18:19], s[18:19]
	s_cbranch_execz .LBB0_185
; %bb.184:                              ;   in Loop: Header=BB0_28 Depth=1
	s_waitcnt vmcnt(1)
	v_mov_b32_e32 v1, v6
	s_waitcnt vmcnt(0)
	v_mov_b32_e32 v7, v37
.LBB0_185:                              ;   in Loop: Header=BB0_28 Depth=1
	s_or_b64 exec, exec, s[18:19]
                                        ; implicit-def: $vgpr0
.LBB0_186:                              ;   in Loop: Header=BB0_28 Depth=1
	s_andn2_saveexec_b64 s[30:31], s[16:17]
	s_cbranch_execz .LBB0_208
; %bb.187:                              ;   in Loop: Header=BB0_28 Depth=1
	v_cmp_lt_i32_e32 vcc, 13, v0
                                        ; implicit-def: $vgpr1
                                        ; implicit-def: $vgpr7
	s_and_saveexec_b64 s[16:17], vcc
	s_xor_b64 s[16:17], exec, s[16:17]
	s_cbranch_execz .LBB0_197
; %bb.188:                              ;   in Loop: Header=BB0_28 Depth=1
	buffer_load_dword v0, off, s[88:91], 0 offset:32 ; 4-byte Folded Reload
                                        ; implicit-def: $vgpr1
	s_waitcnt vmcnt(0)
	v_cmp_lt_i32_e32 vcc, 1, v0
	s_and_saveexec_b64 s[18:19], vcc
	s_xor_b64 s[18:19], exec, s[18:19]
	s_cbranch_execz .LBB0_192
; %bb.189:                              ;   in Loop: Header=BB0_28 Depth=1
	buffer_load_dword v0, off, s[88:91], 0 offset:32 ; 4-byte Folded Reload
	v_mov_b32_e32 v1, v19
	s_waitcnt vmcnt(0)
	v_cmp_gt_i32_e32 vcc, 3, v0
	s_and_saveexec_b64 s[20:21], vcc
; %bb.190:                              ;   in Loop: Header=BB0_28 Depth=1
	v_mul_f32_e32 v1, 0.5, v19
; %bb.191:                              ;   in Loop: Header=BB0_28 Depth=1
	s_or_b64 exec, exec, s[20:21]
.LBB0_192:                              ;   in Loop: Header=BB0_28 Depth=1
	s_or_saveexec_b64 s[18:19], s[18:19]
	v_mov_b32_e32 v7, v51
	s_xor_b64 exec, exec, s[18:19]
	s_cbranch_execz .LBB0_196
; %bb.193:                              ;   in Loop: Header=BB0_28 Depth=1
	buffer_load_dword v0, off, s[88:91], 0 offset:32 ; 4-byte Folded Reload
	s_waitcnt vmcnt(0)
	v_cmp_ne_u32_e32 vcc, 1, v0
	s_and_saveexec_b64 s[20:21], vcc
	s_xor_b64 s[20:21], exec, s[20:21]
	s_or_saveexec_b64 s[20:21], s[20:21]
	v_mul_f32_e32 v1, 0.5, v19
	s_xor_b64 exec, exec, s[20:21]
; %bb.194:                              ;   in Loop: Header=BB0_28 Depth=1
	v_mov_b32_e32 v1, v19
; %bb.195:                              ;   in Loop: Header=BB0_28 Depth=1
	s_or_b64 exec, exec, s[20:21]
	v_add_f32_e32 v7, v51, v51
.LBB0_196:                              ;   in Loop: Header=BB0_28 Depth=1
	s_or_b64 exec, exec, s[18:19]
.LBB0_197:                              ;   in Loop: Header=BB0_28 Depth=1
	s_andn2_saveexec_b64 s[34:35], s[16:17]
	s_cbranch_execz .LBB0_207
; %bb.198:                              ;   in Loop: Header=BB0_28 Depth=1
	global_load_dword v0, v[62:63], off
	buffer_load_dword v1, off, s[88:91], 0 offset:232 ; 4-byte Folded Reload
                                        ; implicit-def: $vgpr23
	s_waitcnt vmcnt(1)
	v_cmp_lt_f32_e32 vcc, 0.5, v0
	v_mov_b32_e32 v0, 0x40490fdb
	v_cndmask_b32_e64 v0, v0, 0, vcc
	s_waitcnt vmcnt(0)
	v_add_f32_e32 v0, v1, v0
	v_and_b32_e32 v1, 0x7fffffff, v0
	v_lshrrev_b32_e32 v7, 23, v1
	v_and_b32_e32 v9, 0x7fffff, v1
	v_cmp_nlt_f32_e64 s[40:41], |v0|, s33
	v_add_u32_e32 v39, 0xffffff88, v7
	v_or_b32_e32 v26, 0x800000, v9
                                        ; implicit-def: $vgpr9
	s_and_saveexec_b64 s[16:17], s[40:41]
	s_xor_b64 s[42:43], exec, s[16:17]
	s_cbranch_execz .LBB0_200
; %bb.199:                              ;   in Loop: Header=BB0_28 Depth=1
	v_mad_u64_u32 v[23:24], s[16:17], v26, s67, 0
	v_cmp_lt_u32_e32 vcc, 63, v39
	v_mov_b32_e32 v7, v24
	v_mad_u64_u32 v[24:25], s[16:17], v26, s68, v[7:8]
	v_mov_b32_e32 v7, v25
	v_mad_u64_u32 v[48:49], s[16:17], v26, s69, v[7:8]
	;; [unrolled: 2-line block ×3, first 2 shown]
	v_cndmask_b32_e32 v7, 0, v52, vcc
	v_add_u32_e32 v9, v7, v39
	v_mov_b32_e32 v7, v50
	v_mad_u64_u32 v[58:59], s[16:17], v26, s71, v[7:8]
	v_cmp_lt_u32_e64 s[16:17], 31, v9
	v_cndmask_b32_e64 v7, 0, v22, s[16:17]
	v_add_u32_e32 v9, v7, v9
	v_mov_b32_e32 v7, v59
	v_mad_u64_u32 v[59:60], s[18:19], v26, s72, v[7:8]
	v_cmp_lt_u32_e64 s[18:19], 31, v9
	v_cndmask_b32_e64 v7, 0, v22, s[18:19]
	v_add_u32_e32 v9, v7, v9
	v_mov_b32_e32 v7, v60
	v_mad_u64_u32 v[60:61], s[20:21], v26, s73, v[7:8]
	v_cndmask_b32_e32 v7, v58, v48, vcc
	v_cndmask_b32_e32 v25, v59, v49, vcc
	;; [unrolled: 1-line block ×4, first 2 shown]
	v_cndmask_b32_e64 v34, v25, v7, s[16:17]
	v_cndmask_b32_e64 v25, v38, v25, s[16:17]
	;; [unrolled: 1-line block ×3, first 2 shown]
	v_cndmask_b32_e32 v24, v49, v24, vcc
	v_cndmask_b32_e64 v38, v38, v25, s[18:19]
	v_cndmask_b32_e64 v25, v25, v34, s[18:19]
	v_sub_u32_e32 v42, 32, v9
	v_cndmask_b32_e64 v7, v7, v24, s[16:17]
	v_alignbit_b32 v43, v38, v25, v42
	v_cmp_eq_u32_e64 s[20:21], 0, v9
	v_cndmask_b32_e64 v34, v34, v7, s[18:19]
	v_cndmask_b32_e32 v23, v48, v23, vcc
	v_cndmask_b32_e64 v9, v43, v38, s[20:21]
	v_alignbit_b32 v38, v25, v34, v42
	v_cndmask_b32_e64 v23, v24, v23, s[16:17]
	v_cndmask_b32_e64 v25, v38, v25, s[20:21]
	v_bfe_u32 v45, v9, 29, 1
	v_cndmask_b32_e64 v7, v7, v23, s[18:19]
	v_alignbit_b32 v38, v9, v25, 30
	v_sub_u32_e32 v47, 0, v45
	v_alignbit_b32 v23, v34, v7, v42
	v_xor_b32_e32 v38, v38, v47
	v_cndmask_b32_e64 v23, v23, v34, s[20:21]
	v_alignbit_b32 v24, v25, v23, 30
	v_ffbh_u32_e32 v25, v38
	v_min_u32_e32 v25, 32, v25
	v_alignbit_b32 v7, v23, v7, 30
	v_xor_b32_e32 v24, v24, v47
	v_sub_u32_e32 v34, 31, v25
	v_xor_b32_e32 v7, v7, v47
	v_alignbit_b32 v38, v38, v24, v34
	v_alignbit_b32 v7, v24, v7, v34
	;; [unrolled: 1-line block ×3, first 2 shown]
	v_ffbh_u32_e32 v24, v23
	v_min_u32_e32 v24, 32, v24
	v_lshrrev_b32_e32 v43, 29, v9
	v_not_b32_e32 v34, v24
	v_alignbit_b32 v7, v23, v7, v34
	v_lshlrev_b32_e32 v23, 31, v43
	v_or_b32_e32 v34, 0x33000000, v23
	v_add_lshl_u32 v24, v24, v25, 23
	v_lshrrev_b32_e32 v7, 9, v7
	v_sub_u32_e32 v24, v34, v24
	v_or_b32_e32 v23, 0.5, v23
	v_lshlrev_b32_e32 v25, 23, v25
	v_or_b32_e32 v7, v24, v7
	v_lshrrev_b32_e32 v24, 9, v38
	v_sub_u32_e32 v23, v23, v25
	v_or_b32_e32 v23, v24, v23
	v_mul_f32_e32 v24, 0x3fc90fda, v23
	v_fma_f32 v25, v23, s74, -v24
	v_fmac_f32_e32 v25, 0x33a22168, v23
	v_fmac_f32_e32 v25, 0x3fc90fda, v7
	v_lshrrev_b32_e32 v7, 30, v9
	v_add_f32_e32 v23, v24, v25
	v_add_u32_e32 v9, v45, v7
.LBB0_200:                              ;   in Loop: Header=BB0_28 Depth=1
	s_or_saveexec_b64 s[16:17], s[42:43]
	v_mul_f32_e64 v7, |v0|, s75
	v_rndne_f32_e32 v7, v7
	s_xor_b64 exec, exec, s[16:17]
; %bb.201:                              ;   in Loop: Header=BB0_28 Depth=1
	v_cvt_i32_f32_e32 v9, v7
	v_fma_f32 v23, v7, s76, |v0|
	v_fmac_f32_e32 v23, 0xb3a22168, v7
	v_fmac_f32_e32 v23, 0xa7c234c4, v7
; %bb.202:                              ;   in Loop: Header=BB0_28 Depth=1
	s_or_b64 exec, exec, s[16:17]
                                        ; implicit-def: $vgpr43
                                        ; implicit-def: $vgpr45
	s_and_saveexec_b64 s[16:17], s[40:41]
	s_xor_b64 s[40:41], exec, s[16:17]
	s_cbranch_execz .LBB0_204
; %bb.203:                              ;   in Loop: Header=BB0_28 Depth=1
	v_mad_u64_u32 v[24:25], s[16:17], v26, s67, 0
	v_cmp_lt_u32_e32 vcc, 63, v39
	v_mov_b32_e32 v7, v25
	v_mad_u64_u32 v[48:49], s[16:17], v26, s68, v[7:8]
	v_mov_b32_e32 v7, v49
	v_mad_u64_u32 v[49:50], s[16:17], v26, s69, v[7:8]
	;; [unrolled: 2-line block ×3, first 2 shown]
	v_cndmask_b32_e32 v7, 0, v52, vcc
	v_add_u32_e32 v25, v7, v39
	v_mov_b32_e32 v7, v59
	v_mad_u64_u32 v[59:60], s[16:17], v26, s71, v[7:8]
	v_cmp_lt_u32_e64 s[16:17], 31, v25
	v_cndmask_b32_e64 v7, 0, v22, s[16:17]
	v_add_u32_e32 v25, v7, v25
	v_mov_b32_e32 v7, v60
	v_mad_u64_u32 v[60:61], s[18:19], v26, s72, v[7:8]
	v_cmp_lt_u32_e64 s[18:19], 31, v25
	v_cndmask_b32_e64 v7, 0, v22, s[18:19]
	v_add_u32_e32 v34, v7, v25
	v_mov_b32_e32 v7, v61
	v_mad_u64_u32 v[25:26], s[20:21], v26, s73, v[7:8]
	v_cndmask_b32_e32 v7, v59, v49, vcc
	v_cndmask_b32_e32 v38, v60, v58, vcc
	;; [unrolled: 1-line block ×4, first 2 shown]
	v_cndmask_b32_e64 v39, v38, v7, s[16:17]
	v_cndmask_b32_e64 v38, v25, v38, s[16:17]
	;; [unrolled: 1-line block ×5, first 2 shown]
	v_sub_u32_e32 v38, 32, v34
	v_cmp_eq_u32_e64 s[20:21], 0, v34
	v_cndmask_b32_e32 v34, v58, v48, vcc
	v_cndmask_b32_e64 v7, v7, v34, s[16:17]
	v_alignbit_b32 v42, v25, v26, v38
	v_cndmask_b32_e64 v39, v39, v7, s[18:19]
	v_cndmask_b32_e64 v25, v42, v25, s[20:21]
	v_alignbit_b32 v42, v26, v39, v38
	v_cndmask_b32_e32 v24, v49, v24, vcc
	v_cndmask_b32_e64 v26, v42, v26, s[20:21]
	v_bfe_u32 v47, v25, 29, 1
	v_cndmask_b32_e64 v24, v34, v24, s[16:17]
	v_alignbit_b32 v42, v25, v26, 30
	v_sub_u32_e32 v45, 0, v47
	v_cndmask_b32_e64 v7, v7, v24, s[18:19]
	v_xor_b32_e32 v42, v42, v45
	v_alignbit_b32 v24, v39, v7, v38
	v_cndmask_b32_e64 v24, v24, v39, s[20:21]
	v_ffbh_u32_e32 v34, v42
	v_alignbit_b32 v26, v26, v24, 30
	v_min_u32_e32 v34, 32, v34
	v_alignbit_b32 v7, v24, v7, 30
	v_xor_b32_e32 v26, v26, v45
	v_sub_u32_e32 v38, 31, v34
	v_xor_b32_e32 v7, v7, v45
	v_alignbit_b32 v39, v42, v26, v38
	v_alignbit_b32 v7, v26, v7, v38
	v_alignbit_b32 v24, v39, v7, 9
	v_ffbh_u32_e32 v26, v24
	v_min_u32_e32 v26, 32, v26
	v_lshrrev_b32_e32 v43, 29, v25
	v_not_b32_e32 v38, v26
	v_alignbit_b32 v7, v24, v7, v38
	v_lshlrev_b32_e32 v24, 31, v43
	v_or_b32_e32 v38, 0x33000000, v24
	v_add_lshl_u32 v26, v26, v34, 23
	v_lshrrev_b32_e32 v7, 9, v7
	v_sub_u32_e32 v26, v38, v26
	v_or_b32_e32 v24, 0.5, v24
	v_lshlrev_b32_e32 v34, 23, v34
	v_or_b32_e32 v7, v26, v7
	v_lshrrev_b32_e32 v26, 9, v39
	v_sub_u32_e32 v24, v24, v34
	v_or_b32_e32 v24, v26, v24
	v_mul_f32_e32 v26, 0x3fc90fda, v24
	v_fma_f32 v34, v24, s74, -v26
	v_fmac_f32_e32 v34, 0x33a22168, v24
	v_fmac_f32_e32 v34, 0x3fc90fda, v7
	v_lshrrev_b32_e32 v7, 30, v25
	v_add_f32_e32 v45, v26, v34
	v_add_u32_e32 v43, v47, v7
                                        ; implicit-def: $vgpr7
	s_or_saveexec_b64 s[16:17], s[40:41]
	v_mov_b32_e32 v61, 0xbe2aaa9d
	s_xor_b64 exec, exec, s[16:17]
	s_cbranch_execnz .LBB0_205
	s_branch .LBB0_206
.LBB0_204:                              ;   in Loop: Header=BB0_28 Depth=1
	s_or_saveexec_b64 s[16:17], s[40:41]
	v_mov_b32_e32 v61, 0xbe2aaa9d
	s_xor_b64 exec, exec, s[16:17]
.LBB0_205:                              ;   in Loop: Header=BB0_28 Depth=1
	v_cvt_i32_f32_e32 v43, v7
	v_fma_f32 v45, v7, s76, |v0|
	v_fmac_f32_e32 v45, 0xb3a22168, v7
	v_fmac_f32_e32 v45, 0xa7c234c4, v7
.LBB0_206:                              ;   in Loop: Header=BB0_28 Depth=1
	s_or_b64 exec, exec, s[16:17]
	v_mul_f32_e32 v7, v23, v23
	v_mov_b32_e32 v24, 0x3c0881c4
	v_fmac_f32_e32 v24, 0xb94c1982, v7
	v_fma_f32 v24, v7, v24, v61
	v_mul_f32_e32 v24, v7, v24
	v_fmac_f32_e32 v23, v23, v24
	v_mov_b32_e32 v24, 0xbab64f3b
	v_fmac_f32_e32 v24, 0x37d75334, v7
	v_mov_b32_e32 v25, 0x3d2aabf7
	v_fma_f32 v24, v7, v24, v25
	v_fma_f32 v24, v7, v24, v41
	v_fma_f32 v7, v7, v24, 1.0
	v_and_b32_e32 v24, 1, v9
	v_cmp_eq_u32_e32 vcc, 0, v24
	buffer_load_dword v24, off, s[88:91], 0 offset:228 ; 4-byte Folded Reload
	v_lshlrev_b32_e32 v9, 30, v9
	v_cndmask_b32_e64 v7, -v23, v7, vcc
	v_and_b32_e32 v9, 0x80000000, v9
	v_xor_b32_e32 v7, v9, v7
	v_mul_f32_e32 v9, v45, v45
	v_mov_b32_e32 v23, 0x3c0881c4
	v_fmac_f32_e32 v23, 0xb94c1982, v9
	v_fma_f32 v23, v9, v23, v61
	v_mul_f32_e32 v23, v9, v23
	v_fmac_f32_e32 v45, v45, v23
	v_mov_b32_e32 v23, 0xbab64f3b
	v_fmac_f32_e32 v23, 0x37d75334, v9
	v_fma_f32 v23, v9, v23, v25
	v_fma_f32 v23, v9, v23, v41
	v_fma_f32 v9, v9, v23, 1.0
	v_and_b32_e32 v23, 1, v43
	v_cmp_eq_u32_e64 s[16:17], 0, v23
	v_lshlrev_b32_e32 v23, 30, v43
	v_cmp_class_f32_e64 vcc, v0, s77
	v_and_b32_e32 v23, 0x80000000, v23
	v_xor_b32_e32 v0, v1, v0
	v_cndmask_b32_e64 v9, v9, v45, s[16:17]
	v_xor_b32_e32 v0, v0, v23
	v_xor_b32_e32 v0, v0, v9
	v_cndmask_b32_e32 v7, v27, v7, vcc
	v_cndmask_b32_e32 v0, v27, v0, vcc
	v_mov_b32_e32 v53, 0x3d2aabf7
	s_waitcnt vmcnt(0)
	v_mul_f32_e32 v7, v24, v7
	v_mul_f32_e32 v1, v24, v0
.LBB0_207:                              ;   in Loop: Header=BB0_28 Depth=1
	s_or_b64 exec, exec, s[34:35]
.LBB0_208:                              ;   in Loop: Header=BB0_28 Depth=1
	s_or_b64 exec, exec, s[30:31]
                                        ; implicit-def: $vgpr0
.LBB0_209:                              ;   in Loop: Header=BB0_28 Depth=1
	s_andn2_saveexec_b64 s[16:17], s[28:29]
	s_cbranch_execz .LBB0_219
; %bb.210:                              ;   in Loop: Header=BB0_28 Depth=1
	v_cmp_lt_i32_e32 vcc, 10, v0
                                        ; implicit-def: $vgpr1
                                        ; implicit-def: $vgpr7
	s_and_saveexec_b64 s[18:19], vcc
	s_xor_b64 s[18:19], exec, s[18:19]
	s_cbranch_execz .LBB0_214
; %bb.211:                              ;   in Loop: Header=BB0_28 Depth=1
	v_cmp_lt_i32_e32 vcc, 11, v0
	s_and_saveexec_b64 s[20:21], vcc
	s_xor_b64 s[20:21], exec, s[20:21]
	s_or_saveexec_b64 s[20:21], s[20:21]
	buffer_load_dword v1, off, s[88:91], 0 offset:52 ; 4-byte Folded Reload
	buffer_load_dword v7, off, s[88:91], 0 offset:48 ; 4-byte Folded Reload
	s_xor_b64 exec, exec, s[20:21]
	s_cbranch_execz .LBB0_213
; %bb.212:                              ;   in Loop: Header=BB0_28 Depth=1
	buffer_load_dword v1, off, s[88:91], 0 offset:108 ; 4-byte Folded Reload
	buffer_load_dword v7, off, s[88:91], 0 offset:104 ; 4-byte Folded Reload
.LBB0_213:                              ;   in Loop: Header=BB0_28 Depth=1
	s_or_b64 exec, exec, s[20:21]
                                        ; implicit-def: $vgpr0
.LBB0_214:                              ;   in Loop: Header=BB0_28 Depth=1
	s_andn2_saveexec_b64 s[18:19], s[18:19]
	s_cbranch_execz .LBB0_218
; %bb.215:                              ;   in Loop: Header=BB0_28 Depth=1
	v_cmp_lt_i32_e32 vcc, 9, v0
	s_and_saveexec_b64 s[20:21], vcc
	s_xor_b64 s[20:21], exec, s[20:21]
	s_or_saveexec_b64 s[20:21], s[20:21]
	buffer_load_dword v0, off, s[88:91], 0 offset:4 ; 4-byte Folded Reload
	buffer_load_dword v7, off, s[88:91], 0 offset:56 ; 4-byte Folded Reload
	s_waitcnt vmcnt(1)
	v_mul_f32_e32 v1, v20, v0
	s_xor_b64 exec, exec, s[20:21]
	s_cbranch_execz .LBB0_217
; %bb.216:                              ;   in Loop: Header=BB0_28 Depth=1
	buffer_load_dword v1, off, s[88:91], 0 offset:116 ; 4-byte Folded Reload
	buffer_load_dword v7, off, s[88:91], 0 offset:112 ; 4-byte Folded Reload
.LBB0_217:                              ;   in Loop: Header=BB0_28 Depth=1
	s_or_b64 exec, exec, s[20:21]
.LBB0_218:                              ;   in Loop: Header=BB0_28 Depth=1
	s_or_b64 exec, exec, s[18:19]
.LBB0_219:                              ;   in Loop: Header=BB0_28 Depth=1
	s_or_b64 exec, exec, s[16:17]
                                        ; implicit-def: $vgpr0
                                        ; implicit-def: $vgpr23
                                        ; implicit-def: $vgpr9
.LBB0_220:                              ;   in Loop: Header=BB0_28 Depth=1
	s_andn2_saveexec_b64 s[16:17], s[26:27]
	s_cbranch_execz .LBB0_25
; %bb.221:                              ;   in Loop: Header=BB0_28 Depth=1
	v_cmp_lt_i32_e32 vcc, 3, v0
                                        ; implicit-def: $vgpr1
                                        ; implicit-def: $vgpr7
	s_and_saveexec_b64 s[18:19], vcc
	s_xor_b64 s[18:19], exec, s[18:19]
	s_cbranch_execz .LBB0_235
; %bb.222:                              ;   in Loop: Header=BB0_28 Depth=1
	v_cmp_lt_i32_e32 vcc, 5, v0
                                        ; implicit-def: $vgpr1
                                        ; implicit-def: $vgpr7
	s_and_saveexec_b64 s[20:21], vcc
	s_xor_b64 s[20:21], exec, s[20:21]
	;; [unrolled: 7-line block ×3, first 2 shown]
	s_cbranch_execz .LBB0_227
; %bb.224:                              ;   in Loop: Header=BB0_28 Depth=1
	v_cmp_lt_i32_e32 vcc, 7, v0
	s_and_saveexec_b64 s[28:29], vcc
	s_xor_b64 s[28:29], exec, s[28:29]
	s_or_saveexec_b64 s[28:29], s[28:29]
	buffer_load_dword v1, off, s[88:91], 0 offset:124 ; 4-byte Folded Reload
	buffer_load_dword v7, off, s[88:91], 0 offset:120 ; 4-byte Folded Reload
	s_xor_b64 exec, exec, s[28:29]
	s_cbranch_execz .LBB0_226
; %bb.225:                              ;   in Loop: Header=BB0_28 Depth=1
	buffer_load_dword v1, off, s[88:91], 0 offset:164 ; 4-byte Folded Reload
	buffer_load_dword v7, off, s[88:91], 0 offset:160 ; 4-byte Folded Reload
.LBB0_226:                              ;   in Loop: Header=BB0_28 Depth=1
	s_or_b64 exec, exec, s[28:29]
.LBB0_227:                              ;   in Loop: Header=BB0_28 Depth=1
	s_andn2_saveexec_b64 s[26:27], s[26:27]
	s_cbranch_execz .LBB0_229
; %bb.228:                              ;   in Loop: Header=BB0_28 Depth=1
	buffer_load_dword v1, off, s[88:91], 0 offset:132 ; 4-byte Folded Reload
	buffer_load_dword v7, off, s[88:91], 0 offset:128 ; 4-byte Folded Reload
.LBB0_229:                              ;   in Loop: Header=BB0_28 Depth=1
	s_or_b64 exec, exec, s[26:27]
                                        ; implicit-def: $vgpr0
.LBB0_230:                              ;   in Loop: Header=BB0_28 Depth=1
	s_andn2_saveexec_b64 s[20:21], s[20:21]
	s_cbranch_execz .LBB0_234
; %bb.231:                              ;   in Loop: Header=BB0_28 Depth=1
	v_cmp_lt_i32_e32 vcc, 4, v0
	s_and_saveexec_b64 s[26:27], vcc
	s_xor_b64 s[26:27], exec, s[26:27]
	s_or_saveexec_b64 s[26:27], s[26:27]
	buffer_load_dword v7, off, s[88:91], 0 offset:36 ; 4-byte Folded Reload
	s_waitcnt vmcnt(2)
	v_add_f32_e32 v1, -1.0, v20
	s_xor_b64 exec, exec, s[26:27]
	s_cbranch_execz .LBB0_233
; %bb.232:                              ;   in Loop: Header=BB0_28 Depth=1
	buffer_load_dword v1, off, s[88:91], 0 offset:240 ; 4-byte Folded Reload
	buffer_load_dword v7, off, s[88:91], 0 offset:236 ; 4-byte Folded Reload
.LBB0_233:                              ;   in Loop: Header=BB0_28 Depth=1
	s_or_b64 exec, exec, s[26:27]
.LBB0_234:                              ;   in Loop: Header=BB0_28 Depth=1
	s_or_b64 exec, exec, s[20:21]
                                        ; implicit-def: $vgpr0
                                        ; implicit-def: $vgpr23
                                        ; implicit-def: $vgpr9
.LBB0_235:                              ;   in Loop: Header=BB0_28 Depth=1
	s_andn2_saveexec_b64 s[18:19], s[18:19]
	s_cbranch_execz .LBB0_24
; %bb.236:                              ;   in Loop: Header=BB0_28 Depth=1
	v_cmp_lt_i32_e32 vcc, 1, v0
                                        ; implicit-def: $vgpr1
                                        ; implicit-def: $vgpr7
	s_and_saveexec_b64 s[20:21], vcc
	s_xor_b64 s[20:21], exec, s[20:21]
	s_cbranch_execz .LBB0_240
; %bb.237:                              ;   in Loop: Header=BB0_28 Depth=1
	v_cmp_lt_i32_e32 vcc, 2, v0
	s_and_saveexec_b64 s[26:27], vcc
	s_xor_b64 s[26:27], exec, s[26:27]
	s_or_saveexec_b64 s[26:27], s[26:27]
	buffer_load_dword v7, off, s[88:91], 0 offset:60 ; 4-byte Folded Reload
	s_waitcnt vmcnt(2)
	v_mov_b32_e32 v1, v32
	s_xor_b64 exec, exec, s[26:27]
	s_cbranch_execz .LBB0_239
; %bb.238:                              ;   in Loop: Header=BB0_28 Depth=1
	buffer_load_dword v1, off, s[88:91], 0 offset:248 ; 4-byte Folded Reload
	buffer_load_dword v7, off, s[88:91], 0 offset:244 ; 4-byte Folded Reload
.LBB0_239:                              ;   in Loop: Header=BB0_28 Depth=1
	s_or_b64 exec, exec, s[26:27]
                                        ; implicit-def: $vgpr23
                                        ; implicit-def: $vgpr9
                                        ; implicit-def: $vgpr0
.LBB0_240:                              ;   in Loop: Header=BB0_28 Depth=1
	s_andn2_saveexec_b64 s[20:21], s[20:21]
	s_cbranch_execz .LBB0_23
; %bb.241:                              ;   in Loop: Header=BB0_28 Depth=1
	v_cmp_lt_i32_e32 vcc, 0, v0
	s_and_saveexec_b64 s[26:27], vcc
	s_xor_b64 s[26:27], exec, s[26:27]
; %bb.242:                              ;   in Loop: Header=BB0_28 Depth=1
                                        ; implicit-def: $vgpr23
                                        ; implicit-def: $vgpr9
                                        ; implicit-def: $vgpr0
; %bb.243:                              ;   in Loop: Header=BB0_28 Depth=1
	s_or_saveexec_b64 s[26:27], s[26:27]
	buffer_load_dword v1, off, s[88:91], 0  ; 4-byte Folded Reload
	s_waitcnt vmcnt(1)
	v_mov_b32_e32 v7, v57
	s_xor_b64 exec, exec, s[26:27]
	s_cbranch_execz .LBB0_22
; %bb.244:                              ;   in Loop: Header=BB0_28 Depth=1
	v_cmp_eq_u32_e32 vcc, 0, v0
	s_and_saveexec_b64 s[28:29], vcc
	s_cbranch_execz .LBB0_21
; %bb.245:                              ;   in Loop: Header=BB0_28 Depth=1
	v_mov_b32_e32 v23, v19
	v_mov_b32_e32 v9, v51
	s_branch .LBB0_21
.LBB0_246:
	buffer_load_dword v3, off, s[88:91], 0 offset:24 ; 4-byte Folded Reload
	buffer_load_dword v4, off, s[88:91], 0 offset:28 ; 4-byte Folded Reload
	v_mov_b32_e32 v2, s59
	v_mov_b32_e32 v12, s63
	;; [unrolled: 1-line block ×3, first 2 shown]
	s_waitcnt vmcnt(0)
	v_lshlrev_b64 v[0:1], 2, v[3:4]
	v_add_co_u32_e32 v4, vcc, s58, v0
	v_addc_co_u32_e32 v5, vcc, v2, v1, vcc
	v_mad_u64_u32 v[6:7], s[0:1], v3, 20, v[4:5]
	global_load_dword v10, v[4:5], off offset:800
	global_load_dwordx4 v[0:3], v[6:7], off offset:1360
	global_load_dwordx2 v[8:9], v[6:7], off offset:1376
	s_nop 0
	buffer_load_dword v4, off, s[88:91], 0 offset:16 ; 4-byte Folded Reload
	buffer_load_dword v5, off, s[88:91], 0 offset:20 ; 4-byte Folded Reload
	s_mov_b32 s0, 0.5
	s_waitcnt vmcnt(4)
	v_add_f32_e32 v10, 0.5, v10
	s_waitcnt vmcnt(3)
	v_mul_f32_e32 v1, v13, v1
	s_waitcnt vmcnt(2)
	v_mul_f32_e32 v8, v13, v8
	s_waitcnt vmcnt(1)
	v_mov_b32_e32 v6, v4
	v_fmac_f32_e32 v1, v11, v0
	v_fmac_f32_e32 v8, v11, v3
	v_ashrrev_i32_e32 v7, 31, v6
	v_add_f32_e32 v0, v2, v1
	v_add_f32_e32 v1, v9, v8
	s_waitcnt vmcnt(0)
	v_lshlrev_b64 v[4:5], 1, v[6:7]
	v_cvt_f16_f32_e32 v0, v0
	v_cvt_f16_f32_e32 v1, v1
	v_lshlrev_b64 v[6:7], 2, v[6:7]
	v_add_co_u32_e32 v4, vcc, s62, v4
	v_addc_co_u32_e32 v5, vcc, v12, v5, vcc
	v_add_co_u32_e32 v6, vcc, s60, v6
	v_fma_mixlo_f16 v10, v10, s0, 0
	v_cvt_i16_f16_e32 v0, v0
	v_cvt_i16_f16_e32 v1, v1
	s_mov_b32 s0, 0x5040100
	v_addc_co_u32_e32 v7, vcc, v14, v7, vcc
	v_cvt_i16_f16_e32 v2, v10
	v_perm_b32 v0, v1, v0, s0
	global_store_short v[4:5], v2, off
	global_store_dword v[6:7], v0, off
	s_endpgm
	.section	.rodata,"a",@progbits
	.p2align	6, 0x0
	.amdhsa_kernel _Z17kernel_initializeP15HIP_vector_typeIsLj2EEPsPKtiPS_IfLj2EEPKf14ConstMemParams
		.amdhsa_group_segment_fixed_size 0
		.amdhsa_private_segment_fixed_size 276
		.amdhsa_kernarg_size 2232
		.amdhsa_user_sgpr_count 6
		.amdhsa_user_sgpr_private_segment_buffer 1
		.amdhsa_user_sgpr_dispatch_ptr 0
		.amdhsa_user_sgpr_queue_ptr 0
		.amdhsa_user_sgpr_kernarg_segment_ptr 1
		.amdhsa_user_sgpr_dispatch_id 0
		.amdhsa_user_sgpr_flat_scratch_init 0
		.amdhsa_user_sgpr_private_segment_size 0
		.amdhsa_uses_dynamic_stack 0
		.amdhsa_system_sgpr_private_segment_wavefront_offset 1
		.amdhsa_system_sgpr_workgroup_id_x 1
		.amdhsa_system_sgpr_workgroup_id_y 0
		.amdhsa_system_sgpr_workgroup_id_z 0
		.amdhsa_system_sgpr_workgroup_info 0
		.amdhsa_system_vgpr_workitem_id 0
		.amdhsa_next_free_vgpr 64
		.amdhsa_next_free_sgpr 92
		.amdhsa_reserve_vcc 1
		.amdhsa_reserve_flat_scratch 0
		.amdhsa_float_round_mode_32 0
		.amdhsa_float_round_mode_16_64 0
		.amdhsa_float_denorm_mode_32 3
		.amdhsa_float_denorm_mode_16_64 3
		.amdhsa_dx10_clamp 1
		.amdhsa_ieee_mode 1
		.amdhsa_fp16_overflow 0
		.amdhsa_exception_fp_ieee_invalid_op 0
		.amdhsa_exception_fp_denorm_src 0
		.amdhsa_exception_fp_ieee_div_zero 0
		.amdhsa_exception_fp_ieee_overflow 0
		.amdhsa_exception_fp_ieee_underflow 0
		.amdhsa_exception_fp_ieee_inexact 0
		.amdhsa_exception_int_div_zero 0
	.end_amdhsa_kernel
	.text
.Lfunc_end0:
	.size	_Z17kernel_initializeP15HIP_vector_typeIsLj2EEPsPKtiPS_IfLj2EEPKf14ConstMemParams, .Lfunc_end0-_Z17kernel_initializeP15HIP_vector_typeIsLj2EEPsPKtiPS_IfLj2EEPKf14ConstMemParams
                                        ; -- End function
	.set _Z17kernel_initializeP15HIP_vector_typeIsLj2EEPsPKtiPS_IfLj2EEPKf14ConstMemParams.num_vgpr, 64
	.set _Z17kernel_initializeP15HIP_vector_typeIsLj2EEPsPKtiPS_IfLj2EEPKf14ConstMemParams.num_agpr, 0
	.set _Z17kernel_initializeP15HIP_vector_typeIsLj2EEPsPKtiPS_IfLj2EEPKf14ConstMemParams.numbered_sgpr, 92
	.set _Z17kernel_initializeP15HIP_vector_typeIsLj2EEPsPKtiPS_IfLj2EEPKf14ConstMemParams.num_named_barrier, 0
	.set _Z17kernel_initializeP15HIP_vector_typeIsLj2EEPsPKtiPS_IfLj2EEPKf14ConstMemParams.private_seg_size, 276
	.set _Z17kernel_initializeP15HIP_vector_typeIsLj2EEPsPKtiPS_IfLj2EEPKf14ConstMemParams.uses_vcc, 1
	.set _Z17kernel_initializeP15HIP_vector_typeIsLj2EEPsPKtiPS_IfLj2EEPKf14ConstMemParams.uses_flat_scratch, 0
	.set _Z17kernel_initializeP15HIP_vector_typeIsLj2EEPsPKtiPS_IfLj2EEPKf14ConstMemParams.has_dyn_sized_stack, 0
	.set _Z17kernel_initializeP15HIP_vector_typeIsLj2EEPsPKtiPS_IfLj2EEPKf14ConstMemParams.has_recursion, 0
	.set _Z17kernel_initializeP15HIP_vector_typeIsLj2EEPsPKtiPS_IfLj2EEPKf14ConstMemParams.has_indirect_call, 0
	.section	.AMDGPU.csdata,"",@progbits
; Kernel info:
; codeLenInByte = 36352
; TotalNumSgprs: 96
; NumVgprs: 64
; ScratchSize: 276
; MemoryBound: 0
; FloatMode: 240
; IeeeMode: 1
; LDSByteSize: 0 bytes/workgroup (compile time only)
; SGPRBlocks: 11
; VGPRBlocks: 15
; NumSGPRsForWavesPerEU: 96
; NumVGPRsForWavesPerEU: 64
; Occupancy: 4
; WaveLimiterHint : 0
; COMPUTE_PGM_RSRC2:SCRATCH_EN: 1
; COMPUTE_PGM_RSRC2:USER_SGPR: 6
; COMPUTE_PGM_RSRC2:TRAP_HANDLER: 0
; COMPUTE_PGM_RSRC2:TGID_X_EN: 1
; COMPUTE_PGM_RSRC2:TGID_Y_EN: 0
; COMPUTE_PGM_RSRC2:TGID_Z_EN: 0
; COMPUTE_PGM_RSRC2:TIDIG_COMP_CNT: 0
	.text
	.protected	_Z14kernel_iterateP15HIP_vector_typeIsLj2EEPsPKtiPKf14ConstMemParams ; -- Begin function _Z14kernel_iterateP15HIP_vector_typeIsLj2EEPsPKtiPKf14ConstMemParams
	.globl	_Z14kernel_iterateP15HIP_vector_typeIsLj2EEPsPKtiPKf14ConstMemParams
	.p2align	8
	.type	_Z14kernel_iterateP15HIP_vector_typeIsLj2EEPsPKtiPKf14ConstMemParams,@function
_Z14kernel_iterateP15HIP_vector_typeIsLj2EEPsPKtiPKf14ConstMemParams: ; @_Z14kernel_iterateP15HIP_vector_typeIsLj2EEPsPKtiPKf14ConstMemParams
; %bb.0:
	s_mov_b64 s[86:87], s[2:3]
	s_mov_b64 s[84:85], s[0:1]
	s_load_dword s0, s[4:5], 0x7bc
	s_add_u32 s84, s84, s7
	s_addc_u32 s85, s85, 0
	s_add_u32 s58, s4, 40
	s_load_dword s1, s[4:5], 0x788
	s_load_dword s10, s[4:5], 0x75c
	s_addc_u32 s59, s5, 0
	s_waitcnt lgkmcnt(0)
	s_and_b32 s0, s0, 0xffff
	s_mul_i32 s6, s6, s0
	v_add_u32_e32 v6, s6, v0
	v_and_b32_e32 v4, 0xffffffe0, v6
	v_cmp_gt_i32_e32 vcc, s1, v4
	v_cndmask_b32_e64 v1, 15, 5, vcc
	v_lshlrev_b32_e32 v2, 2, v1
	global_load_dword v2, v2, s[58:59] offset:1848
	v_cndmask_b32_e64 v0, 11, 0, vcc
	v_cndmask_b32_e64 v3, 20, 10, vcc
	v_add_u32_e32 v5, 1, v1
	s_cmp_lt_i32 s10, 2
	s_waitcnt vmcnt(0)
	v_cmp_gt_i32_e32 vcc, v2, v4
	v_cndmask_b32_e32 v2, v5, v0, vcc
	v_cndmask_b32_e32 v3, v3, v1, vcc
	v_add_u16_e32 v0, v2, v3
	v_lshrrev_b16_e32 v5, 1, v0
	v_lshlrev_b32_e32 v0, 2, v5
	global_load_dword v7, v0, s[58:59] offset:1848
	s_load_dwordx2 s[0:1], s[4:5], 0x10
	s_load_dword s2, s[4:5], 0x18
	s_waitcnt lgkmcnt(0)
	v_mov_b32_e32 v8, s1
	v_lshl_add_u32 v0, s2, 14, v6
	v_ashrrev_i32_e32 v1, 31, v0
	v_lshlrev_b64 v[0:1], 1, v[0:1]
	v_add_co_u32_e32 v0, vcc, s0, v0
	v_addc_co_u32_e32 v1, vcc, v8, v1, vcc
	global_load_ushort v10, v[0:1], off
	v_add_u32_e32 v0, 1, v5
	s_load_dwordx4 s[0:3], s[4:5], 0x0
	s_waitcnt vmcnt(1)
	v_cmp_gt_i32_e32 vcc, v7, v4
	v_cndmask_b32_e32 v0, v0, v2, vcc
	v_cndmask_b32_e32 v1, v3, v5, vcc
	v_add_u32_e32 v2, v0, v1
	v_lshrrev_b32_e32 v2, 1, v2
	v_lshlrev_b32_e32 v3, 2, v2
	global_load_dword v5, v3, s[58:59] offset:1848
	v_add_u32_e32 v8, 1, v2
	v_mov_b32_e32 v7, s59
	s_waitcnt vmcnt(1)
	v_lshlrev_b32_e32 v3, 2, v10
	s_waitcnt vmcnt(0)
	v_cmp_gt_i32_e32 vcc, v5, v4
	v_cndmask_b32_e32 v11, v8, v0, vcc
	v_cndmask_b32_e32 v12, v1, v2, vcc
	v_add_co_u32_e32 v8, vcc, v11, v12
	v_addc_co_u32_e64 v9, s[6:7], 0, 0, vcc
	v_lshrrev_b64 v[0:1], 1, v[8:9]
	v_lshlrev_b32_e32 v5, 1, v10
	v_lshlrev_b64 v[0:1], 2, v[0:1]
	s_waitcnt lgkmcnt(0)
	global_load_dword v2, v3, s[0:1]
	v_add_co_u32_e32 v0, vcc, s58, v0
	v_addc_co_u32_e32 v1, vcc, v7, v1, vcc
	global_load_dword v0, v[0:1], off offset:1848
	v_alignbit_b32 v8, v9, v8, 1
	global_load_ushort v1, v5, s[2:3]
	v_add_u32_e32 v9, 1, v8
	v_mov_b32_e32 v7, s3
	s_waitcnt vmcnt(1)
	v_cmp_gt_i32_e32 vcc, v0, v4
	v_cndmask_b32_e32 v0, v9, v11, vcc
	s_waitcnt vmcnt(0)
	buffer_store_dword v1, off, s[84:87], 0 offset:24 ; 4-byte Folded Spill
	v_cvt_f16_i16_e32 v1, v2
	v_cvt_f16_i16_sdwa v2, v2 dst_sel:DWORD dst_unused:UNUSED_PAD src0_sel:WORD_1
	v_cvt_f32_f16_e32 v1, v1
	v_cvt_f32_f16_e32 v2, v2
	v_cndmask_b32_e32 v4, v12, v8, vcc
	v_add_u32_e32 v0, v0, v4
	v_mov_b32_e32 v9, s1
	s_cbranch_scc1 .LBB1_10
; %bb.1:
	s_cmp_eq_u32 s10, 2
	v_mov_b32_e32 v8, v1
	v_mov_b32_e32 v4, v2
	s_cbranch_scc0 .LBB1_9
; %bb.2:
	v_lshrrev_b32_e32 v8, 1, v0
	v_mul_lo_u16_e32 v10, 0xab, v8
	v_lshrrev_b16_e32 v10, 9, v10
	v_mul_lo_u16_e32 v10, 3, v10
	v_sub_u16_e32 v10, v8, v10
	v_mov_b32_e32 v8, 1
	v_mul_f32_e32 v4, 0.5, v2
	v_cmp_gt_i16_sdwa s[6:7], v10, v8 src0_sel:BYTE_0 src1_sel:DWORD
	s_and_saveexec_b64 s[8:9], s[6:7]
	s_xor_b64 s[6:7], exec, s[8:9]
; %bb.3:
	v_add_f32_e32 v4, 0.5, v4
                                        ; implicit-def: $vgpr10
; %bb.4:
	s_or_saveexec_b64 s[6:7], s[6:7]
	v_mul_f32_e32 v8, 0.5, v1
	s_xor_b64 exec, exec, s[6:7]
	s_cbranch_execz .LBB1_8
; %bb.5:
	v_mov_b32_e32 v11, 1
	v_cmp_eq_u16_sdwa s[12:13], v10, v11 src0_sel:BYTE_0 src1_sel:DWORD
	s_and_saveexec_b64 s[8:9], s[12:13]
; %bb.6:
	v_add_f32_e32 v8, 0.5, v8
; %bb.7:
	s_or_b64 exec, exec, s[8:9]
.LBB1_8:
	s_or_b64 exec, exec, s[6:7]
.LBB1_9:
	s_mov_b64 s[6:7], 0
	s_branch .LBB1_11
.LBB1_10:
	s_mov_b64 s[6:7], -1
                                        ; implicit-def: $vgpr8
                                        ; implicit-def: $vgpr4
.LBB1_11:
	v_add_co_u32_e32 v10, vcc, s2, v5
	v_addc_co_u32_e32 v11, vcc, 0, v7, vcc
	buffer_store_dword v10, off, s[84:87], 0 offset:28 ; 4-byte Folded Spill
	s_nop 0
	buffer_store_dword v11, off, s[84:87], 0 offset:32 ; 4-byte Folded Spill
	v_add_co_u32_e64 v10, s[0:1], s0, v3
	s_andn2_b64 vcc, exec, s[6:7]
	v_addc_co_u32_e64 v11, s[0:1], 0, v9, s[0:1]
	buffer_store_dword v10, off, s[84:87], 0 offset:36 ; 4-byte Folded Spill
	s_nop 0
	buffer_store_dword v11, off, s[84:87], 0 offset:40 ; 4-byte Folded Spill
	s_cbranch_vccnz .LBB1_21
; %bb.12:
	s_cmp_lg_u32 s10, 1
	s_cbranch_scc1 .LBB1_20
; %bb.13:
	s_mov_b32 s0, 0x55555556
	v_mul_hi_i32 v3, v6, s0
	v_mul_f32_e32 v2, 0.5, v2
	v_lshrrev_b32_e32 v4, 31, v3
	v_add_u32_e32 v3, v3, v4
	v_lshl_add_u32 v3, v3, 1, v3
	v_sub_u32_e32 v3, v6, v3
	v_cmp_lt_i32_e32 vcc, 1, v3
	s_and_saveexec_b64 s[0:1], vcc
	s_xor_b64 s[0:1], exec, s[0:1]
; %bb.14:
	v_add_f32_e32 v2, 0.5, v2
                                        ; implicit-def: $vgpr3
; %bb.15:
	s_or_saveexec_b64 s[0:1], s[0:1]
	v_mul_f32_e32 v1, 0.5, v1
	s_xor_b64 exec, exec, s[0:1]
	s_cbranch_execz .LBB1_19
; %bb.16:
	v_cmp_eq_u32_e32 vcc, 1, v3
	s_and_saveexec_b64 s[2:3], vcc
; %bb.17:
	v_add_f32_e32 v1, 0.5, v1
; %bb.18:
	s_or_b64 exec, exec, s[2:3]
.LBB1_19:
	s_or_b64 exec, exec, s[0:1]
.LBB1_20:
	v_mov_b32_e32 v4, v2
	v_mov_b32_e32 v8, v1
.LBB1_21:
	v_lshrrev_b32_e32 v14, 1, v0
	v_mad_u64_u32 v[12:13], s[0:1], v14, 24, s[58:59]
	s_load_dwordx2 s[2:3], s[4:5], 0x20
	s_mov_b32 s26, 0xf800000
	global_load_dwordx2 v[0:1], v[12:13], off offset:896
	global_load_dwordx4 v[16:19], v[12:13], off offset:880
	v_mov_b32_e32 v11, 0
	v_mov_b32_e32 v15, v11
	s_movk_i32 s75, 0x204
	v_mov_b32_e32 v60, 0x7fc00000
	v_not_b32_e32 v39, 63
	s_mov_b32 s63, 0xfe5163ab
	s_mov_b32 s64, 0x3c439041
	;; [unrolled: 1-line block ×10, first 2 shown]
	s_brev_b32 s60, -2
	s_brev_b32 s33, 18
	s_movk_i32 s73, 0x1f8
	s_mov_b32 s76, 0x3fb8aa3b
	s_mov_b32 s78, 0xc2ce8ed0
	;; [unrolled: 1-line block ×8, first 2 shown]
	s_waitcnt vmcnt(0)
	buffer_store_dword v16, off, s[84:87], 0 offset:80 ; 4-byte Folded Spill
	s_nop 0
	buffer_store_dword v17, off, s[84:87], 0 offset:84 ; 4-byte Folded Spill
	buffer_store_dword v18, off, s[84:87], 0 offset:88 ; 4-byte Folded Spill
	;; [unrolled: 1-line block ×4, first 2 shown]
	s_nop 0
	buffer_store_dword v1, off, s[84:87], 0 offset:76 ; 4-byte Folded Spill
	buffer_store_dword v14, off, s[84:87], 0 offset:44 ; 4-byte Folded Spill
	s_nop 0
	buffer_store_dword v15, off, s[84:87], 0 offset:48 ; 4-byte Folded Spill
	v_mul_f32_e32 v5, v4, v17
	v_fmac_f32_e32 v5, v8, v16
	v_add_f32_e32 v22, v18, v5
	v_mul_f32_e32 v0, v4, v0
	v_fmac_f32_e32 v0, v8, v19
	v_add_f32_e32 v23, v1, v0
	v_mul_f32_e32 v0, v23, v23
	v_fma_f32 v3, v22, v22, v0
	v_cmp_gt_f32_e32 vcc, s26, v3
	v_mul_f32_e32 v4, 0x4f800000, v3
	v_cndmask_b32_e32 v4, v3, v4, vcc
	v_sqrt_f32_e32 v5, v4
	v_cmp_class_f32_e64 s[4:5], v22, s75
	v_and_b32_e32 v1, 0x7fffffff, v22
	v_and_b32_e32 v2, 0x7fffffff, v23
	v_add_u32_e32 v7, -1, v5
	v_fma_f32 v8, -v7, v5, v4
	v_cmp_ge_f32_e64 s[0:1], 0, v8
	v_add_u32_e32 v8, 1, v5
	v_cndmask_b32_e64 v7, v5, v7, s[0:1]
	v_fma_f32 v5, -v8, v5, v4
	v_cmp_lt_f32_e64 s[0:1], 0, v5
	v_cndmask_b32_e64 v5, v7, v8, s[0:1]
	v_mul_f32_e32 v7, 0x37800000, v5
	v_cndmask_b32_e32 v7, v5, v7, vcc
	v_mov_b32_e32 v5, 0x260
	v_cmp_class_f32_e32 vcc, v4, v5
	v_cndmask_b32_e32 v24, v7, v4, vcc
	v_div_scale_f32 v4, s[0:1], v24, v24, 1.0
	v_cmp_gt_i32_e64 s[0:1], 0, v23
	v_fma_f32 v0, v22, v22, -v0
	v_mul_f32_e32 v61, 0x40490fdb, v23
	v_mul_f32_e32 v41, 0x40400000, v23
	;; [unrolled: 1-line block ×3, first 2 shown]
	v_and_b32_e32 v40, 0x7fffffff, v44
	v_mul_f32_e32 v62, 0x40490fdb, v24
	v_add_f32_e32 v49, v22, v22
	v_cmp_lt_f32_e64 s[44:45], |v61|, s33
	v_cmp_class_f32_e64 s[48:49], v61, s73
	v_rcp_f32_e32 v7, v4
	v_fma_f32 v8, -v4, v7, 1.0
	v_fmac_f32_e32 v7, v8, v7
	v_div_scale_f32 v8, vcc, 1.0, v24, 1.0
	v_mul_f32_e32 v9, v8, v7
	v_fma_f32 v10, -v4, v9, v8
	v_fmac_f32_e32 v9, v10, v7
	v_fma_f32 v4, -v4, v9, v8
	v_div_fmas_f32 v4, v4, v7, v9
	v_max_f32_e64 v8, |v23|, |v22|
	v_frexp_exp_i32_f32_e32 v9, v8
	v_frexp_mant_f32_e32 v8, v8
	v_rcp_f32_e32 v8, v8
	v_cmp_gt_f32_e64 vcc, |v22|, |v23|
	v_div_fixup_f32 v7, v4, v24, 1.0
	v_min_f32_e64 v4, |v23|, |v22|
	v_frexp_exp_i32_f32_e32 v10, v4
	v_frexp_mant_f32_e32 v4, v4
	v_mul_f32_e32 v4, v4, v8
	v_sub_u32_e32 v8, v10, v9
	v_ldexp_f32 v4, v4, v8
	v_mul_f32_e32 v8, v4, v4
	v_mov_b32_e32 v9, 0xbc7a590c
	v_fmac_f32_e32 v9, 0x3b2d2a58, v8
	v_mov_b32_e32 v10, 0x3d29fb3f
	v_fmac_f32_e32 v10, v8, v9
	;; [unrolled: 2-line block ×7, first 2 shown]
	v_mul_f32_e32 v8, v8, v9
	v_fmac_f32_e32 v4, v4, v8
	v_sub_f32_e32 v8, 0x3fc90fdb, v4
	v_cndmask_b32_e32 v4, v4, v8, vcc
	v_sub_f32_e32 v8, 0x40490fdb, v4
	v_cmp_gt_f32_e32 vcc, 0, v23
	v_cndmask_b32_e32 v4, v4, v8, vcc
	v_mov_b32_e32 v8, 0x40490fdb
	v_cndmask_b32_e64 v8, 0, v8, s[0:1]
	v_cmp_eq_f32_e64 s[0:1], 0, v22
	v_cndmask_b32_e64 v4, v4, v8, s[0:1]
	v_mov_b32_e32 v8, 0x3f490fdb
	v_mov_b32_e32 v9, 0x4016cbe4
	v_cmp_class_f32_e64 s[0:1], v23, s75
	v_cndmask_b32_e32 v8, v8, v9, vcc
	s_and_b64 vcc, s[4:5], s[0:1]
	v_cndmask_b32_e32 v4, v4, v8, vcc
	v_lshlrev_b64 v[8:9], 4, v[14:15]
	v_cmp_o_f32_e32 vcc, v23, v22
	v_cndmask_b32_e32 v4, v60, v4, vcc
	v_add_co_u32_e32 v45, vcc, v12, v8
	v_and_b32_e32 v8, 0x3fffff, v6
	v_addc_co_u32_e32 v54, vcc, v13, v9, vcc
	v_lshlrev_b32_e32 v8, 2, v8
	s_waitcnt lgkmcnt(0)
	v_add_co_u32_e32 v9, vcc, s2, v8
	v_mov_b32_e32 v8, s3
	v_addc_co_u32_e32 v10, vcc, 0, v8, vcc
	buffer_store_dword v9, off, s[84:87], 0 ; 4-byte Folded Spill
	s_nop 0
	buffer_store_dword v10, off, s[84:87], 0 offset:4 ; 4-byte Folded Spill
	s_load_dword s0, s[58:59], 0x730
	v_and_b32_e32 v37, 0x7fffffff, v4
	v_bfi_b32 v50, s60, v4, v22
	v_mul_f32_e32 v38, v24, v50
	s_waitcnt lgkmcnt(0)
	v_lshl_add_u32 v6, s0, 7, v6
	v_and_b32_e32 v6, 0x3fffff, v6
	v_lshlrev_b32_e32 v6, 2, v6
	v_add_co_u32_e32 v9, vcc, s2, v6
	v_addc_co_u32_e32 v10, vcc, 0, v8, vcc
	buffer_store_dword v9, off, s[84:87], 0 offset:224 ; 4-byte Folded Spill
	s_nop 0
	buffer_store_dword v10, off, s[84:87], 0 offset:228 ; 4-byte Folded Spill
	v_mov_b32_e32 v9, v1
	v_lshrrev_b32_e32 v6, 23, v9
	v_add_u32_e32 v6, 0xffffff88, v6
	v_cmp_lt_u32_e32 vcc, 63, v6
	v_cndmask_b32_e32 v8, 0, v39, vcc
	v_add_u32_e32 v6, v8, v6
	v_cmp_lt_u32_e64 s[2:3], 31, v6
	v_not_b32_e32 v1, 31
	v_cndmask_b32_e64 v8, 0, v1, s[2:3]
	v_add_u32_e32 v6, v8, v6
	v_cmp_lt_u32_e64 s[4:5], 31, v6
	v_cndmask_b32_e64 v8, 0, v1, s[4:5]
	v_add_u32_e32 v6, v8, v6
	v_and_b32_e32 v8, 0x7fffff, v9
	v_or_b32_e32 v8, 0x800000, v8
	v_mad_u64_u32 v[9:10], s[8:9], v8, s63, 0
	v_cmp_eq_u32_e64 s[6:7], 0, v6
	v_sub_u32_e32 v6, 32, v6
	v_mad_u64_u32 v[12:13], s[8:9], v8, s64, v[10:11]
	v_cmp_lt_f32_e64 s[0:1], |v22|, s33
	v_mov_b32_e32 v10, v13
	v_mad_u64_u32 v[13:14], s[8:9], v8, s65, v[10:11]
	v_mov_b32_e32 v10, v14
	v_mad_u64_u32 v[14:15], s[8:9], v8, s66, v[10:11]
	v_cndmask_b32_e32 v9, v13, v9, vcc
	v_mov_b32_e32 v10, v15
	v_mad_u64_u32 v[15:16], s[8:9], v8, s67, v[10:11]
	v_cndmask_b32_e32 v12, v14, v12, vcc
	v_cndmask_b32_e64 v9, v12, v9, s[2:3]
	v_mov_b32_e32 v10, v16
	v_mad_u64_u32 v[16:17], s[8:9], v8, s68, v[10:11]
	v_mov_b32_e32 v10, v17
	v_mad_u64_u32 v[17:18], s[8:9], v8, s69, v[10:11]
	v_cndmask_b32_e32 v19, v16, v14, vcc
	v_cndmask_b32_e32 v8, v17, v15, vcc
	;; [unrolled: 1-line block ×4, first 2 shown]
	v_cndmask_b32_e64 v10, v8, v19, s[2:3]
	v_cndmask_b32_e64 v8, v16, v8, s[2:3]
	;; [unrolled: 1-line block ×6, first 2 shown]
	v_alignbit_b32 v17, v8, v10, v6
	v_cndmask_b32_e64 v15, v16, v14, s[4:5]
	v_cndmask_b32_e64 v8, v17, v8, s[6:7]
	v_alignbit_b32 v16, v10, v15, v6
	v_cndmask_b32_e64 v10, v16, v10, s[6:7]
	v_bfe_u32 v18, v8, 29, 1
	v_alignbit_b32 v16, v8, v10, 30
	v_sub_u32_e32 v19, 0, v18
	v_cndmask_b32_e64 v9, v14, v9, s[4:5]
	v_xor_b32_e32 v16, v16, v19
	v_alignbit_b32 v6, v15, v9, v6
	v_cndmask_b32_e64 v6, v6, v15, s[6:7]
	v_ffbh_u32_e32 v12, v16
	v_alignbit_b32 v10, v10, v6, 30
	v_min_u32_e32 v12, 32, v12
	v_alignbit_b32 v6, v6, v9, 30
	v_xor_b32_e32 v10, v10, v19
	v_sub_u32_e32 v13, 31, v12
	v_xor_b32_e32 v6, v6, v19
	v_alignbit_b32 v14, v16, v10, v13
	v_alignbit_b32 v6, v10, v6, v13
	;; [unrolled: 1-line block ×3, first 2 shown]
	v_ffbh_u32_e32 v10, v9
	v_min_u32_e32 v10, 32, v10
	v_lshrrev_b32_e32 v17, 29, v8
	v_not_b32_e32 v13, v10
	v_alignbit_b32 v6, v9, v6, v13
	v_lshlrev_b32_e32 v9, 31, v17
	v_or_b32_e32 v13, 0x33000000, v9
	v_add_lshl_u32 v10, v10, v12, 23
	v_lshrrev_b32_e32 v6, 9, v6
	v_sub_u32_e32 v10, v13, v10
	v_or_b32_e32 v9, 0.5, v9
	v_lshlrev_b32_e32 v12, 23, v12
	v_or_b32_e32 v6, v10, v6
	v_lshrrev_b32_e32 v10, 9, v14
	v_sub_u32_e32 v9, v9, v12
	v_or_b32_e32 v9, v10, v9
	v_mul_f32_e32 v10, 0x3fc90fda, v9
	v_fma_f32 v12, v9, s70, -v10
	v_fmac_f32_e32 v12, 0x33a22168, v9
	v_fmac_f32_e32 v12, 0x3fc90fda, v6
	v_add_f32_e32 v6, v10, v12
	buffer_store_dword v6, off, s[84:87], 0 offset:8 ; 4-byte Folded Spill
	v_lshrrev_b32_e32 v6, 30, v8
	v_add_u32_e32 v6, v18, v6
	buffer_store_dword v6, off, s[84:87], 0 offset:20 ; 4-byte Folded Spill
	v_mul_f32_e64 v6, |v22|, s71
	v_rndne_f32_e32 v6, v6
	v_fma_f32 v35, v6, s72, |v22|
	v_fmac_f32_e32 v35, 0xb3a22168, v6
	v_fmac_f32_e32 v35, 0xa7c234c4, v6
	v_cvt_i32_f32_e32 v6, v6
	v_cmp_class_f32_e64 s[2:3], v22, s73
	v_cmp_lt_f32_e64 s[4:5], |v23|, s33
	buffer_store_dword v6, off, s[84:87], 0 offset:56 ; 4-byte Folded Spill
	v_lshrrev_b32_e32 v6, 23, v2
	v_add_u32_e32 v6, 0xffffff88, v6
	v_cmp_lt_u32_e32 vcc, 63, v6
	v_cndmask_b32_e32 v8, 0, v39, vcc
	v_add_u32_e32 v6, v8, v6
	v_cmp_lt_u32_e64 s[6:7], 31, v6
	v_cndmask_b32_e64 v8, 0, v1, s[6:7]
	v_add_u32_e32 v6, v8, v6
	v_cmp_lt_u32_e64 s[8:9], 31, v6
	v_cndmask_b32_e64 v8, 0, v1, s[8:9]
	v_add_u32_e32 v6, v8, v6
	v_and_b32_e32 v8, 0x7fffff, v2
	v_or_b32_e32 v17, 0x800000, v8
	v_mad_u64_u32 v[8:9], s[12:13], v17, s63, 0
	v_cmp_eq_u32_e64 s[10:11], 0, v6
	v_sub_u32_e32 v6, 32, v6
	v_mov_b32_e32 v10, v9
	v_mad_u64_u32 v[9:10], s[12:13], v17, s64, v[10:11]
	v_mad_u64_u32 v[12:13], s[12:13], v17, s65, v[10:11]
	v_mov_b32_e32 v10, v13
	v_mad_u64_u32 v[13:14], s[12:13], v17, s66, v[10:11]
	v_cndmask_b32_e32 v8, v12, v8, vcc
	v_mov_b32_e32 v10, v14
	v_mad_u64_u32 v[14:15], s[12:13], v17, s67, v[10:11]
	v_cndmask_b32_e32 v9, v13, v9, vcc
	v_cndmask_b32_e64 v8, v9, v8, s[6:7]
	v_mov_b32_e32 v10, v15
	v_mad_u64_u32 v[15:16], s[12:13], v17, s68, v[10:11]
	v_mov_b32_e32 v10, v16
	v_mad_u64_u32 v[16:17], s[12:13], v17, s69, v[10:11]
	v_cndmask_b32_e32 v18, v15, v13, vcc
	v_cndmask_b32_e32 v10, v16, v14, vcc
	;; [unrolled: 1-line block ×4, first 2 shown]
	v_cndmask_b32_e64 v16, v10, v18, s[6:7]
	v_cndmask_b32_e64 v10, v15, v10, s[6:7]
	;; [unrolled: 1-line block ×6, first 2 shown]
	v_alignbit_b32 v17, v10, v16, v6
	v_cndmask_b32_e64 v14, v15, v13, s[8:9]
	v_cndmask_b32_e64 v10, v17, v10, s[10:11]
	v_alignbit_b32 v15, v16, v14, v6
	v_cndmask_b32_e64 v15, v15, v16, s[10:11]
	v_bfe_u32 v18, v10, 29, 1
	v_alignbit_b32 v16, v10, v15, 30
	v_sub_u32_e32 v19, 0, v18
	v_cndmask_b32_e64 v8, v13, v8, s[8:9]
	v_xor_b32_e32 v16, v16, v19
	v_alignbit_b32 v6, v14, v8, v6
	v_cndmask_b32_e64 v6, v6, v14, s[10:11]
	v_ffbh_u32_e32 v12, v16
	v_alignbit_b32 v9, v15, v6, 30
	v_min_u32_e32 v12, 32, v12
	v_alignbit_b32 v6, v6, v8, 30
	v_xor_b32_e32 v9, v9, v19
	v_sub_u32_e32 v13, 31, v12
	v_xor_b32_e32 v6, v6, v19
	v_alignbit_b32 v14, v16, v9, v13
	v_alignbit_b32 v6, v9, v6, v13
	;; [unrolled: 1-line block ×3, first 2 shown]
	v_ffbh_u32_e32 v9, v8
	v_min_u32_e32 v9, 32, v9
	v_lshrrev_b32_e32 v17, 29, v10
	v_not_b32_e32 v13, v9
	v_alignbit_b32 v6, v8, v6, v13
	v_lshlrev_b32_e32 v8, 31, v17
	v_or_b32_e32 v13, 0x33000000, v8
	v_add_lshl_u32 v9, v9, v12, 23
	v_lshrrev_b32_e32 v6, 9, v6
	v_sub_u32_e32 v9, v13, v9
	v_or_b32_e32 v8, 0.5, v8
	v_lshlrev_b32_e32 v12, 23, v12
	v_or_b32_e32 v6, v9, v6
	v_lshrrev_b32_e32 v9, 9, v14
	v_sub_u32_e32 v8, v8, v12
	v_or_b32_e32 v8, v9, v8
	v_mul_f32_e32 v9, 0x3fc90fda, v8
	v_fma_f32 v12, v8, s70, -v9
	v_fmac_f32_e32 v12, 0x33a22168, v8
	v_fmac_f32_e32 v12, 0x3fc90fda, v6
	v_lshrrev_b32_e32 v6, 30, v10
	v_mul_f32_e64 v8, |v23|, s71
	v_add_u32_e32 v2, v18, v6
	v_rndne_f32_e32 v8, v8
	buffer_store_dword v2, off, s[84:87], 0 offset:64 ; 4-byte Folded Spill
	v_cvt_i32_f32_e32 v2, v8
	v_fma_f32 v43, v8, s72, |v23|
	v_fmac_f32_e32 v43, 0xb3a22168, v8
	v_fmac_f32_e32 v43, 0xa7c234c4, v8
	buffer_store_dword v2, off, s[84:87], 0 offset:68 ; 4-byte Folded Spill
	v_add_u32_e32 v2, v17, v6
	v_div_scale_f32 v6, s[8:9], v0, v0, 1.0
	v_add_f32_e32 v48, v9, v12
	buffer_store_dword v2, off, s[84:87], 0 offset:60 ; 4-byte Folded Spill
	v_cmp_class_f32_e64 s[6:7], v23, s73
	v_rcp_f32_e32 v8, v6
	v_fma_f32 v9, -v6, v8, 1.0
	v_fmac_f32_e32 v8, v9, v8
	v_div_scale_f32 v9, vcc, 1.0, v0, 1.0
	v_mul_f32_e32 v10, v9, v8
	v_fma_f32 v12, -v6, v10, v9
	v_fmac_f32_e32 v10, v12, v8
	v_fma_f32 v6, -v6, v10, v9
	v_div_fmas_f32 v6, v6, v8, v10
	v_div_fixup_f32 v0, v6, v0, 1.0
	v_mul_f32_e64 v2, v22, |v0|
	v_mul_f32_e64 v0, v23, |v0|
	buffer_store_dword v0, off, s[84:87], 0 offset:280 ; 4-byte Folded Spill
	v_fma_f32 v0, v24, v24, 4.0
	v_div_scale_f32 v6, s[8:9], v0, v0, 4.0
	buffer_store_dword v2, off, s[84:87], 0 offset:276 ; 4-byte Folded Spill
	v_rcp_f32_e32 v8, v6
	v_fma_f32 v9, -v6, v8, 1.0
	v_fmac_f32_e32 v8, v9, v8
	v_div_scale_f32 v9, vcc, 4.0, v0, 4.0
	v_mul_f32_e32 v10, v9, v8
	v_fma_f32 v12, -v6, v10, v9
	v_fmac_f32_e32 v10, v12, v8
	v_fma_f32 v6, -v6, v10, v9
	v_div_fmas_f32 v6, v6, v8, v10
	v_div_fixup_f32 v0, v6, v0, 4.0
	v_mul_f32_e32 v2, v22, v0
	v_mul_f32_e32 v0, v23, v0
	buffer_store_dword v0, off, s[84:87], 0 offset:236 ; 4-byte Folded Spill
	v_add_f32_e32 v0, 1.0, v24
	v_div_scale_f32 v6, s[8:9], v0, v0, 2.0
	buffer_store_dword v2, off, s[84:87], 0 offset:232 ; 4-byte Folded Spill
	v_cmp_lt_f32_e64 s[8:9], |v4|, s33
	v_rcp_f32_e32 v8, v6
	v_fma_f32 v9, -v6, v8, 1.0
	v_fmac_f32_e32 v8, v9, v8
	v_div_scale_f32 v9, vcc, 2.0, v0, 2.0
	v_mul_f32_e32 v10, v9, v8
	v_fma_f32 v12, -v6, v10, v9
	v_fmac_f32_e32 v10, v12, v8
	v_fma_f32 v6, -v6, v10, v9
	v_div_fmas_f32 v6, v6, v8, v10
	v_div_fixup_f32 v0, v6, v0, 2.0
	v_mul_f32_e32 v2, v22, v0
	v_mul_f32_e32 v0, v23, v0
	buffer_store_dword v0, off, s[84:87], 0 offset:16 ; 4-byte Folded Spill
	v_lshrrev_b32_e32 v0, 23, v37
	v_add_u32_e32 v0, 0xffffff88, v0
	v_cmp_lt_u32_e32 vcc, 63, v0
	v_cndmask_b32_e32 v6, 0, v39, vcc
	v_add_u32_e32 v0, v6, v0
	v_cmp_lt_u32_e64 s[10:11], 31, v0
	v_cndmask_b32_e64 v6, 0, v1, s[10:11]
	v_add_u32_e32 v0, v6, v0
	v_cmp_lt_u32_e64 s[12:13], 31, v0
	v_cndmask_b32_e64 v6, 0, v1, s[12:13]
	v_add_u32_e32 v0, v6, v0
	v_and_b32_e32 v6, 0x7fffff, v37
	v_or_b32_e32 v6, 0x800000, v6
	v_mad_u64_u32 v[8:9], s[16:17], v6, s63, 0
	v_cmp_eq_u32_e64 s[14:15], 0, v0
	v_sub_u32_e32 v0, 32, v0
	v_mov_b32_e32 v10, v9
	v_mad_u64_u32 v[9:10], s[16:17], v6, s64, v[10:11]
	buffer_store_dword v2, off, s[84:87], 0 offset:12 ; 4-byte Folded Spill
	v_mad_u64_u32 v[12:13], s[16:17], v6, s65, v[10:11]
	v_mov_b32_e32 v10, v13
	v_mad_u64_u32 v[13:14], s[16:17], v6, s66, v[10:11]
	v_cndmask_b32_e32 v8, v12, v8, vcc
	v_mov_b32_e32 v10, v14
	v_mad_u64_u32 v[14:15], s[16:17], v6, s67, v[10:11]
	v_cndmask_b32_e32 v9, v13, v9, vcc
	v_cndmask_b32_e64 v8, v9, v8, s[10:11]
	v_mov_b32_e32 v10, v15
	v_mad_u64_u32 v[15:16], s[16:17], v6, s68, v[10:11]
	v_mov_b32_e32 v10, v16
	v_mad_u64_u32 v[16:17], s[16:17], v6, s69, v[10:11]
	v_cndmask_b32_e32 v18, v15, v13, vcc
	v_cndmask_b32_e32 v6, v16, v14, vcc
	;; [unrolled: 1-line block ×4, first 2 shown]
	v_cndmask_b32_e64 v10, v6, v18, s[10:11]
	v_cndmask_b32_e64 v6, v15, v6, s[10:11]
	;; [unrolled: 1-line block ×6, first 2 shown]
	v_alignbit_b32 v16, v6, v10, v0
	v_cndmask_b32_e64 v14, v15, v13, s[12:13]
	v_cndmask_b32_e64 v6, v16, v6, s[14:15]
	v_alignbit_b32 v15, v10, v14, v0
	v_cndmask_b32_e64 v10, v15, v10, s[14:15]
	v_bfe_u32 v17, v6, 29, 1
	v_cndmask_b32_e64 v8, v13, v8, s[12:13]
	v_alignbit_b32 v15, v6, v10, 30
	v_sub_u32_e32 v18, 0, v17
	v_alignbit_b32 v0, v14, v8, v0
	v_xor_b32_e32 v15, v15, v18
	v_cndmask_b32_e64 v0, v0, v14, s[14:15]
	v_alignbit_b32 v9, v10, v0, 30
	v_ffbh_u32_e32 v10, v15
	v_min_u32_e32 v10, 32, v10
	v_alignbit_b32 v0, v0, v8, 30
	v_xor_b32_e32 v9, v9, v18
	v_sub_u32_e32 v12, 31, v10
	v_xor_b32_e32 v0, v0, v18
	v_alignbit_b32 v13, v15, v9, v12
	v_alignbit_b32 v0, v9, v0, v12
	;; [unrolled: 1-line block ×3, first 2 shown]
	v_ffbh_u32_e32 v9, v8
	v_min_u32_e32 v9, 32, v9
	v_lshrrev_b32_e32 v16, 29, v6
	v_not_b32_e32 v12, v9
	v_alignbit_b32 v0, v8, v0, v12
	v_lshlrev_b32_e32 v8, 31, v16
	v_or_b32_e32 v12, 0x33000000, v8
	v_add_lshl_u32 v9, v9, v10, 23
	v_lshrrev_b32_e32 v0, 9, v0
	v_sub_u32_e32 v9, v12, v9
	v_or_b32_e32 v8, 0.5, v8
	v_lshlrev_b32_e32 v10, 23, v10
	v_or_b32_e32 v0, v9, v0
	v_lshrrev_b32_e32 v9, 9, v13
	v_sub_u32_e32 v8, v8, v10
	v_or_b32_e32 v8, v9, v8
	v_mul_f32_e32 v9, 0x3fc90fda, v8
	v_fma_f32 v10, v8, s70, -v9
	v_fmac_f32_e32 v10, 0x33a22168, v8
	v_fmac_f32_e32 v10, 0x3fc90fda, v0
	v_add_f32_e32 v0, v9, v10
	buffer_store_dword v0, off, s[84:87], 0 offset:96 ; 4-byte Folded Spill
	v_lshrrev_b32_e32 v0, 30, v6
	v_add_u32_e32 v0, v17, v0
	buffer_store_dword v0, off, s[84:87], 0 offset:100 ; 4-byte Folded Spill
	v_mul_f32_e64 v0, |v4|, s71
	v_rndne_f32_e32 v0, v0
	v_fma_f32 v47, v0, s72, |v4|
	v_fmac_f32_e32 v47, 0xb3a22168, v0
	v_fmac_f32_e32 v47, 0xa7c234c4, v0
	v_cvt_i32_f32_e32 v0, v0
	v_mul_f32_e32 v15, 0x40490fdb, v22
	v_cmp_class_f32_e64 s[10:11], v4, s73
	v_and_b32_e32 v4, 0x7fffffff, v15
	buffer_store_dword v0, off, s[84:87], 0 offset:104 ; 4-byte Folded Spill
	v_lshrrev_b32_e32 v0, 23, v4
	v_add_u32_e32 v0, 0xffffff88, v0
	v_cmp_lt_u32_e32 vcc, 63, v0
	v_cndmask_b32_e32 v6, 0, v39, vcc
	v_add_u32_e32 v0, v6, v0
	v_cmp_lt_u32_e64 s[12:13], 31, v0
	v_cndmask_b32_e64 v6, 0, v1, s[12:13]
	v_add_u32_e32 v0, v6, v0
	v_cmp_lt_u32_e64 s[14:15], 31, v0
	v_cndmask_b32_e64 v6, 0, v1, s[14:15]
	v_add_u32_e32 v0, v6, v0
	v_and_b32_e32 v6, 0x7fffff, v4
	v_or_b32_e32 v6, 0x800000, v6
	v_mad_u64_u32 v[18:19], s[18:19], v6, s63, 0
	v_cmp_eq_u32_e64 s[16:17], 0, v0
	v_cmp_lt_f32_e64 s[20:21], |v15|, s33
	v_mov_b32_e32 v10, v19
	v_mad_u64_u32 v[8:9], s[18:19], v6, s64, v[10:11]
	v_cmp_class_f32_e64 s[34:35], v15, s73
	v_mov_b32_e32 v10, v9
	v_mad_u64_u32 v[19:20], s[18:19], v6, s65, v[10:11]
	v_mov_b32_e32 v10, v20
	v_mad_u64_u32 v[9:10], s[18:19], v6, s66, v[10:11]
	v_cndmask_b32_e32 v18, v19, v18, vcc
	v_mad_u64_u32 v[12:13], s[18:19], v6, s67, v[10:11]
	v_cndmask_b32_e32 v8, v9, v8, vcc
	v_mov_b32_e32 v10, v13
	v_mad_u64_u32 v[13:14], s[18:19], v6, s68, v[10:11]
	v_mov_b32_e32 v10, v14
	v_mad_u64_u32 v[16:17], s[18:19], v6, s69, v[10:11]
	v_cndmask_b32_e32 v20, v13, v9, vcc
	v_cndmask_b32_e32 v6, v16, v12, vcc
	;; [unrolled: 1-line block ×4, first 2 shown]
	v_cndmask_b32_e64 v10, v6, v20, s[12:13]
	v_cndmask_b32_e64 v6, v13, v6, s[12:13]
	;; [unrolled: 1-line block ×5, first 2 shown]
	v_sub_u32_e32 v6, 32, v0
	v_cndmask_b32_e64 v9, v12, v8, s[12:13]
	v_alignbit_b32 v0, v13, v10, v6
	v_cndmask_b32_e64 v12, v14, v9, s[14:15]
	v_cndmask_b32_e64 v0, v0, v13, s[16:17]
	v_alignbit_b32 v13, v10, v12, v6
	v_cndmask_b32_e64 v8, v8, v18, s[12:13]
	v_cndmask_b32_e64 v10, v13, v10, s[16:17]
	v_bfe_u32 v16, v0, 29, 1
	v_cndmask_b32_e64 v8, v9, v8, s[14:15]
	v_alignbit_b32 v13, v0, v10, 30
	v_sub_u32_e32 v17, 0, v16
	v_alignbit_b32 v6, v12, v8, v6
	v_xor_b32_e32 v13, v13, v17
	v_cndmask_b32_e64 v6, v6, v12, s[16:17]
	v_alignbit_b32 v9, v10, v6, 30
	v_ffbh_u32_e32 v10, v13
	v_min_u32_e32 v10, 32, v10
	v_alignbit_b32 v6, v6, v8, 30
	v_xor_b32_e32 v9, v9, v17
	v_sub_u32_e32 v12, 31, v10
	v_xor_b32_e32 v6, v6, v17
	v_alignbit_b32 v13, v13, v9, v12
	v_alignbit_b32 v6, v9, v6, v12
	;; [unrolled: 1-line block ×3, first 2 shown]
	v_lshrrev_b32_e32 v14, 29, v0
	v_ffbh_u32_e32 v9, v8
	v_lshrrev_b32_e32 v0, 30, v0
	v_min_u32_e32 v9, 32, v9
	v_add_u32_e32 v0, v16, v0
	v_not_b32_e32 v12, v9
	buffer_store_dword v0, off, s[84:87], 0 offset:160 ; 4-byte Folded Spill
	v_mul_f32_e64 v0, |v15|, s71
	v_alignbit_b32 v6, v8, v6, v12
	v_lshlrev_b32_e32 v8, 31, v14
	v_rndne_f32_e32 v0, v0
	v_or_b32_e32 v12, 0x33000000, v8
	v_add_lshl_u32 v9, v9, v10, 23
	v_fma_f32 v30, v0, s72, |v15|
	v_lshrrev_b32_e32 v6, 9, v6
	v_sub_u32_e32 v9, v12, v9
	v_or_b32_e32 v8, 0.5, v8
	v_lshlrev_b32_e32 v10, 23, v10
	v_fmac_f32_e32 v30, 0xb3a22168, v0
	v_or_b32_e32 v6, v9, v6
	v_lshrrev_b32_e32 v9, 9, v13
	v_sub_u32_e32 v8, v8, v10
	v_fmac_f32_e32 v30, 0xa7c234c4, v0
	v_cvt_i32_f32_e32 v0, v0
	v_or_b32_e32 v8, v9, v8
	v_mul_f32_e32 v9, 0x3fc90fda, v8
	v_fma_f32 v10, v8, s70, -v9
	s_mov_b32 s12, 0xbf317218
	v_fmac_f32_e32 v10, 0x33a22168, v8
	buffer_store_dword v0, off, s[84:87], 0 offset:164 ; 4-byte Folded Spill
	v_add_f32_e64 v0, |v23|, s12
	v_fmac_f32_e32 v10, 0x3fc90fda, v6
	v_sub_f32_e64 v6, v0, |v23|
	v_sub_f32_e32 v8, v6, v0
	v_add_f32_e64 v8, |v23|, v8
	v_add_f32_e32 v6, 0x3f317218, v6
	v_sub_f32_e32 v6, v8, v6
	v_add_f32_e32 v6, 0x3102e308, v6
	v_add_f32_e32 v8, v0, v6
	v_sub_f32_e32 v0, v0, v8
	v_add_f32_e32 v0, v6, v0
	v_mul_f32_e32 v6, 0x3fb8aa3b, v8
	v_rndne_f32_e32 v6, v6
	v_fmac_f32_e32 v8, 0xbf317200, v6
	v_add_f32_e32 v2, v9, v10
	v_add_f32_e32 v9, v0, v8
	v_sub_f32_e32 v8, v8, v9
	v_add_f32_e32 v0, v0, v8
	v_mul_f32_e32 v8, 0x35bfbc00, v6
	v_sub_f32_e32 v10, v9, v8
	v_sub_f32_e32 v9, v9, v10
	;; [unrolled: 1-line block ×3, first 2 shown]
	v_add_f32_e32 v0, v0, v8
	v_add_f32_e32 v8, v10, v0
	v_sub_f32_e32 v9, v10, v8
	v_add_f32_e32 v0, v0, v9
	v_mul_f32_e32 v9, 0x2ea39ef3, v6
	v_sub_f32_e32 v10, v8, v9
	v_sub_f32_e32 v8, v8, v10
	;; [unrolled: 1-line block ×3, first 2 shown]
	v_add_f32_e32 v0, v0, v8
	v_add_f32_e32 v8, v10, v0
	v_mov_b32_e32 v9, 0x3c091de6
	v_fmac_f32_e32 v9, 0x3ab42872, v8
	v_mov_b32_e32 v12, 0x3d2aadcc
	v_fmac_f32_e32 v12, v8, v9
	;; [unrolled: 2-line block ×4, first 2 shown]
	v_sub_f32_e32 v9, v10, v8
	v_add_f32_e32 v0, v0, v9
	v_mul_f32_e32 v10, v8, v8
	v_add_f32_e32 v9, v0, v0
	v_fma_f32 v13, v8, v8, -v10
	v_fmac_f32_e32 v13, v8, v9
	v_add_f32_e32 v9, v10, v13
	v_sub_f32_e32 v10, v9, v10
	v_sub_f32_e32 v10, v13, v10
	v_mul_f32_e32 v13, v12, v9
	v_fma_f32 v9, v9, v12, -v13
	v_fmac_f32_e32 v9, v10, v12
	v_add_f32_e32 v10, v13, v9
	v_sub_f32_e32 v12, v10, v13
	v_sub_f32_e32 v9, v9, v12
	v_add_f32_e32 v12, v8, v10
	v_sub_f32_e32 v8, v12, v8
	v_sub_f32_e32 v8, v10, v8
	v_add_f32_e32 v0, v0, v9
	v_add_f32_e32 v0, v0, v8
	;; [unrolled: 1-line block ×3, first 2 shown]
	v_sub_f32_e32 v9, v8, v12
	v_sub_f32_e32 v0, v0, v9
	v_add_f32_e32 v9, 1.0, v8
	v_add_f32_e32 v10, -1.0, v9
	v_sub_f32_e32 v8, v8, v10
	v_cvt_i32_f32_e32 v6, v6
	v_add_f32_e32 v0, v0, v8
	v_add_f32_e32 v8, v9, v0
	v_sub_f32_e32 v9, v8, v9
	v_sub_f32_e32 v0, v0, v9
	v_ldexp_f32 v8, v8, v6
	v_ldexp_f32 v0, v0, v6
	v_rcp_f32_e32 v6, v8
	s_mov_b32 s12, 0x42b2d4fc
	buffer_store_dword v2, off, s[84:87], 0 offset:156 ; 4-byte Folded Spill
	v_cmp_gt_f32_e64 vcc, |v23|, s12
	v_mul_f32_e32 v9, v8, v6
	v_fma_f32 v10, v6, v8, -v9
	v_fmac_f32_e32 v10, v6, v0
	v_add_f32_e32 v12, v9, v10
	v_sub_f32_e32 v13, 1.0, v12
	v_sub_f32_e32 v14, 1.0, v13
	v_sub_f32_e32 v9, v12, v9
	v_sub_f32_e32 v14, v14, v12
	;; [unrolled: 1-line block ×3, first 2 shown]
	v_add_f32_e32 v9, v9, v14
	v_add_f32_e32 v10, v13, v9
	v_mul_f32_e32 v12, v6, v10
	v_mul_f32_e32 v14, v8, v12
	v_fma_f32 v16, v12, v8, -v14
	v_fmac_f32_e32 v16, v12, v0
	v_sub_f32_e32 v13, v13, v10
	v_add_f32_e32 v9, v9, v13
	v_add_f32_e32 v13, v14, v16
	v_sub_f32_e32 v17, v10, v13
	v_sub_f32_e32 v10, v10, v17
	;; [unrolled: 1-line block ×4, first 2 shown]
	v_add_f32_e32 v9, v9, v10
	v_sub_f32_e32 v10, v14, v16
	v_add_f32_e32 v9, v10, v9
	v_add_f32_e32 v9, v17, v9
	;; [unrolled: 1-line block ×3, first 2 shown]
	v_mul_f32_e32 v9, v6, v9
	v_sub_f32_e32 v6, v10, v6
	v_sub_f32_e32 v6, v12, v6
	v_add_f32_e32 v6, v6, v9
	v_add_f32_e32 v9, v10, v6
	v_sub_f32_e32 v10, v9, v10
	v_ldexp_f32 v9, v9, -2
	v_sub_f32_e32 v6, v6, v10
	v_add_f32_e32 v10, v8, v9
	v_ldexp_f32 v6, v6, -2
	v_sub_f32_e32 v12, v10, v8
	v_sub_f32_e32 v12, v9, v12
	v_add_f32_e32 v13, v0, v6
	v_add_f32_e32 v12, v13, v12
	;; [unrolled: 1-line block ×3, first 2 shown]
	v_mov_b32_e32 v2, 0x7f800000
	v_cndmask_b32_e32 v10, v10, v2, vcc
	buffer_store_dword v10, off, s[84:87], 0 offset:180 ; 4-byte Folded Spill
	v_sub_f32_e32 v10, v8, v9
	v_sub_f32_e32 v8, v8, v10
	v_sub_f32_e32 v8, v8, v9
	v_add_f32_e32 v0, v0, v8
	v_sub_f32_e32 v0, v0, v6
	v_add_f32_e32 v0, v10, v0
	s_mov_b32 s12, 0x39800000
	v_cndmask_b32_e32 v0, v0, v2, vcc
	v_cmp_lt_f32_e64 s[12:13], |v23|, s12
	v_cndmask_b32_e64 v0, v0, |v23|, s[12:13]
	v_bfi_b32 v0, s60, v0, v23
	buffer_store_dword v0, off, s[84:87], 0 offset:184 ; 4-byte Folded Spill
	v_add_f32_e32 v0, -1.0, v22
	v_mul_f32_e32 v6, 0x3fb8aa3b, v0
	v_fma_f32 v8, v0, s76, -v6
	v_rndne_f32_e32 v9, v6
	v_fmac_f32_e32 v8, 0x32a5705f, v0
	v_sub_f32_e32 v6, v6, v9
	v_add_f32_e32 v6, v6, v8
	v_exp_f32_e32 v6, v6
	v_cvt_i32_f32_e32 v8, v9
	v_cmp_ngt_f32_e32 vcc, s78, v0
	v_and_b32_e32 v16, 0x7fffffff, v61
	v_mov_b32_e32 v2, 0x7f800000
	v_ldexp_f32 v6, v6, v8
	v_cndmask_b32_e32 v6, 0, v6, vcc
	v_cmp_nlt_f32_e32 vcc, s79, v0
	v_lshrrev_b32_e32 v0, 23, v16
	v_add_u32_e32 v0, 0xffffff88, v0
	v_cndmask_b32_e32 v42, v2, v6, vcc
	v_cmp_lt_u32_e32 vcc, 63, v0
	v_cndmask_b32_e32 v6, 0, v39, vcc
	v_add_u32_e32 v0, v6, v0
	v_cmp_lt_u32_e64 s[12:13], 31, v0
	v_cndmask_b32_e64 v6, 0, v1, s[12:13]
	v_add_u32_e32 v0, v6, v0
	v_cmp_lt_u32_e64 s[14:15], 31, v0
	v_cndmask_b32_e64 v6, 0, v1, s[14:15]
	v_add_u32_e32 v0, v6, v0
	v_and_b32_e32 v6, 0x7fffff, v16
	v_or_b32_e32 v6, 0x800000, v6
	v_mad_u64_u32 v[18:19], s[18:19], v6, s63, 0
	v_cmp_eq_u32_e64 s[16:17], 0, v0
	v_mov_b32_e32 v10, v19
	v_mad_u64_u32 v[8:9], s[18:19], v6, s64, v[10:11]
	v_mov_b32_e32 v10, v9
	v_mad_u64_u32 v[19:20], s[18:19], v6, s65, v[10:11]
	;; [unrolled: 2-line block ×3, first 2 shown]
	v_cndmask_b32_e32 v18, v19, v18, vcc
	v_mad_u64_u32 v[12:13], s[18:19], v6, s67, v[10:11]
	v_cndmask_b32_e32 v8, v9, v8, vcc
	v_mov_b32_e32 v10, v13
	v_mad_u64_u32 v[13:14], s[18:19], v6, s68, v[10:11]
	v_mov_b32_e32 v10, v14
	v_mad_u64_u32 v[32:33], s[18:19], v6, s69, v[10:11]
	v_cndmask_b32_e32 v17, v13, v9, vcc
	v_cndmask_b32_e32 v6, v32, v12, vcc
	;; [unrolled: 1-line block ×4, first 2 shown]
	v_cndmask_b32_e64 v10, v6, v17, s[12:13]
	v_cndmask_b32_e64 v6, v13, v6, s[12:13]
	;; [unrolled: 1-line block ×5, first 2 shown]
	v_sub_u32_e32 v6, 32, v0
	v_cndmask_b32_e64 v9, v12, v8, s[12:13]
	v_alignbit_b32 v0, v13, v10, v6
	v_cndmask_b32_e64 v12, v14, v9, s[14:15]
	v_cndmask_b32_e64 v0, v0, v13, s[16:17]
	v_alignbit_b32 v13, v10, v12, v6
	v_cndmask_b32_e64 v8, v8, v18, s[12:13]
	v_cndmask_b32_e64 v10, v13, v10, s[16:17]
	v_bfe_u32 v17, v0, 29, 1
	v_cndmask_b32_e64 v8, v9, v8, s[14:15]
	v_alignbit_b32 v13, v0, v10, 30
	v_sub_u32_e32 v20, 0, v17
	v_alignbit_b32 v6, v12, v8, v6
	v_xor_b32_e32 v13, v13, v20
	v_cndmask_b32_e64 v6, v6, v12, s[16:17]
	v_alignbit_b32 v9, v10, v6, 30
	v_ffbh_u32_e32 v10, v13
	v_min_u32_e32 v10, 32, v10
	v_alignbit_b32 v6, v6, v8, 30
	v_xor_b32_e32 v9, v9, v20
	v_sub_u32_e32 v12, 31, v10
	v_xor_b32_e32 v6, v6, v20
	v_alignbit_b32 v13, v13, v9, v12
	v_alignbit_b32 v6, v9, v6, v12
	;; [unrolled: 1-line block ×3, first 2 shown]
	v_ffbh_u32_e32 v9, v8
	v_lshrrev_b32_e32 v14, 29, v0
	v_min_u32_e32 v9, 32, v9
	v_lshrrev_b32_e32 v0, 30, v0
	v_not_b32_e32 v12, v9
	v_add_u32_e32 v0, v17, v0
	v_alignbit_b32 v6, v8, v6, v12
	v_lshlrev_b32_e32 v8, 31, v14
	buffer_store_dword v0, off, s[84:87], 0 offset:212 ; 4-byte Folded Spill
	v_mul_f32_e64 v0, |v61|, s71
	v_or_b32_e32 v12, 0x33000000, v8
	v_add_lshl_u32 v9, v9, v10, 23
	v_rndne_f32_e32 v0, v0
	v_lshrrev_b32_e32 v6, 9, v6
	v_sub_u32_e32 v9, v12, v9
	v_or_b32_e32 v8, 0.5, v8
	v_lshlrev_b32_e32 v10, 23, v10
	v_fma_f32 v27, v0, s72, |v61|
	v_or_b32_e32 v6, v9, v6
	v_lshrrev_b32_e32 v9, 9, v13
	v_sub_u32_e32 v8, v8, v10
	v_fmac_f32_e32 v27, 0xb3a22168, v0
	v_or_b32_e32 v8, v9, v8
	v_fmac_f32_e32 v27, 0xa7c234c4, v0
	v_cvt_i32_f32_e32 v0, v0
	v_mul_f32_e32 v9, 0x3fc90fda, v8
	v_fma_f32 v10, v8, s70, -v9
	v_fmac_f32_e32 v10, 0x33a22168, v8
	v_and_b32_e32 v8, 0x7fffffff, v41
	buffer_store_dword v0, off, s[84:87], 0 offset:220 ; 4-byte Folded Spill
	v_lshrrev_b32_e32 v0, 23, v8
	v_add_u32_e32 v0, 0xffffff88, v0
	v_cmp_lt_u32_e32 vcc, 63, v0
	v_fmac_f32_e32 v10, 0x3fc90fda, v6
	v_cndmask_b32_e32 v6, 0, v39, vcc
	v_add_u32_e32 v0, v6, v0
	v_cmp_lt_u32_e64 s[12:13], 31, v0
	v_cndmask_b32_e64 v6, 0, v1, s[12:13]
	v_add_u32_e32 v0, v6, v0
	v_cmp_lt_u32_e64 s[14:15], 31, v0
	v_cndmask_b32_e64 v6, 0, v1, s[14:15]
	v_add_u32_e32 v0, v6, v0
	v_and_b32_e32 v6, 0x7fffff, v8
	v_or_b32_e32 v6, 0x800000, v6
	v_mad_u64_u32 v[18:19], s[22:23], v6, s63, 0
	v_add_f32_e32 v2, v9, v10
	v_cmp_eq_u32_e64 s[18:19], 0, v0
	v_mov_b32_e32 v10, v19
	v_mad_u64_u32 v[9:10], s[22:23], v6, s64, v[10:11]
	buffer_store_dword v2, off, s[84:87], 0 offset:208 ; 4-byte Folded Spill
	v_cmp_lt_f32_e64 s[16:17], |v41|, s33
	v_mad_u64_u32 v[19:20], s[22:23], v6, s65, v[10:11]
	v_mov_b32_e32 v10, v20
	v_mad_u64_u32 v[12:13], s[22:23], v6, s66, v[10:11]
	v_cndmask_b32_e32 v18, v19, v18, vcc
	v_mov_b32_e32 v10, v13
	v_mad_u64_u32 v[13:14], s[22:23], v6, s67, v[10:11]
	v_cndmask_b32_e32 v9, v12, v9, vcc
	v_mov_b32_e32 v10, v14
	v_mad_u64_u32 v[32:33], s[22:23], v6, s68, v[10:11]
	v_mov_b32_e32 v10, v33
	v_mad_u64_u32 v[33:34], s[22:23], v6, s69, v[10:11]
	v_cndmask_b32_e32 v14, v32, v12, vcc
	v_cmp_class_f32_e64 s[22:23], v41, s73
	v_cndmask_b32_e32 v6, v33, v13, vcc
	v_cndmask_b32_e32 v17, v34, v32, vcc
	v_cndmask_b32_e32 v13, v13, v19, vcc
	v_cndmask_b32_e64 v10, v6, v14, s[12:13]
	v_cndmask_b32_e64 v6, v17, v6, s[12:13]
	;; [unrolled: 1-line block ×6, first 2 shown]
	v_sub_u32_e32 v6, 32, v0
	v_cndmask_b32_e64 v13, v14, v12, s[14:15]
	v_alignbit_b32 v0, v17, v10, v6
	v_alignbit_b32 v14, v10, v13, v6
	v_cndmask_b32_e64 v0, v0, v17, s[18:19]
	v_cndmask_b32_e64 v10, v14, v10, s[18:19]
	;; [unrolled: 1-line block ×3, first 2 shown]
	v_alignbit_b32 v14, v0, v10, 30
	v_bfe_i32 v20, v0, 29, 1
	v_cndmask_b32_e64 v9, v12, v9, s[14:15]
	v_xor_b32_e32 v14, v14, v20
	v_alignbit_b32 v6, v13, v9, v6
	v_cndmask_b32_e64 v6, v6, v13, s[18:19]
	v_ffbh_u32_e32 v12, v14
	v_alignbit_b32 v10, v10, v6, 30
	v_min_u32_e32 v12, 32, v12
	v_alignbit_b32 v6, v6, v9, 30
	v_xor_b32_e32 v10, v10, v20
	v_sub_u32_e32 v13, 31, v12
	v_xor_b32_e32 v6, v6, v20
	v_alignbit_b32 v14, v14, v10, v13
	v_alignbit_b32 v6, v10, v6, v13
	;; [unrolled: 1-line block ×3, first 2 shown]
	v_ffbh_u32_e32 v10, v9
	v_min_u32_e32 v10, 32, v10
	v_lshrrev_b32_e32 v17, 29, v0
	v_not_b32_e32 v13, v10
	v_alignbit_b32 v6, v9, v6, v13
	v_lshlrev_b32_e32 v9, 31, v17
	v_or_b32_e32 v13, 0x33000000, v9
	v_add_lshl_u32 v10, v10, v12, 23
	v_lshrrev_b32_e32 v6, 9, v6
	v_sub_u32_e32 v10, v13, v10
	v_or_b32_e32 v9, 0.5, v9
	v_lshlrev_b32_e32 v12, 23, v12
	v_or_b32_e32 v6, v10, v6
	v_lshrrev_b32_e32 v10, 9, v14
	v_sub_u32_e32 v9, v9, v12
	v_lshrrev_b32_e32 v0, 30, v0
	v_or_b32_e32 v9, v10, v9
	v_add_u32_e32 v0, v17, v0
	v_mul_f32_e32 v10, 0x3fc90fda, v9
	buffer_store_dword v0, off, s[84:87], 0 offset:136 ; 4-byte Folded Spill
	v_mul_f32_e64 v0, |v41|, s71
	v_fma_f32 v12, v9, s70, -v10
	v_rndne_f32_e32 v0, v0
	v_fmac_f32_e32 v12, 0x33a22168, v9
	v_fma_f32 v9, v0, s72, |v41|
	v_fmac_f32_e32 v9, 0xb3a22168, v0
	v_fmac_f32_e32 v9, 0xa7c234c4, v0
	v_cvt_i32_f32_e32 v0, v0
	v_fmac_f32_e32 v12, 0x3fc90fda, v6
	v_add_f32_e32 v2, v10, v12
	buffer_store_dword v2, off, s[84:87], 0 offset:132 ; 4-byte Folded Spill
	buffer_store_dword v0, off, s[84:87], 0 offset:140 ; 4-byte Folded Spill
	v_lshrrev_b32_e32 v0, 23, v40
	v_add_u32_e32 v0, 0xffffff88, v0
	v_cmp_lt_u32_e32 vcc, 63, v0
	v_cndmask_b32_e32 v6, 0, v39, vcc
	v_add_u32_e32 v0, v6, v0
	v_cmp_lt_u32_e64 s[14:15], 31, v0
	v_cndmask_b32_e64 v6, 0, v1, s[14:15]
	v_add_u32_e32 v0, v6, v0
	v_cmp_lt_u32_e64 s[18:19], 31, v0
	v_cndmask_b32_e64 v6, 0, v1, s[18:19]
	v_add_u32_e32 v0, v6, v0
	v_and_b32_e32 v6, 0x7fffff, v40
	v_or_b32_e32 v6, 0x800000, v6
	v_mad_u64_u32 v[18:19], s[28:29], v6, s63, 0
	v_cmp_eq_u32_e64 s[24:25], 0, v0
	v_cmp_lt_f32_e64 s[12:13], |v44|, s33
	v_mov_b32_e32 v10, v19
	v_mad_u64_u32 v[12:13], s[28:29], v6, s64, v[10:11]
	v_mov_b32_e32 v10, v13
	v_mad_u64_u32 v[19:20], s[28:29], v6, s65, v[10:11]
	v_mov_b32_e32 v10, v20
	v_mad_u64_u32 v[13:14], s[28:29], v6, s66, v[10:11]
	v_cndmask_b32_e32 v18, v19, v18, vcc
	v_mov_b32_e32 v10, v14
	v_mad_u64_u32 v[32:33], s[28:29], v6, s67, v[10:11]
	v_cndmask_b32_e32 v12, v13, v12, vcc
	v_mov_b32_e32 v10, v33
	v_mad_u64_u32 v[33:34], s[28:29], v6, s68, v[10:11]
	;; [unrolled: 3-line block ×3, first 2 shown]
	v_cndmask_b32_e32 v14, v33, v13, vcc
	v_cndmask_b32_e64 v13, v20, v12, s[14:15]
	v_cndmask_b32_e32 v6, v57, v32, vcc
	v_cndmask_b32_e32 v17, v58, v33, vcc
	v_cndmask_b32_e64 v10, v6, v14, s[14:15]
	v_cndmask_b32_e64 v6, v17, v6, s[14:15]
	;; [unrolled: 1-line block ×5, first 2 shown]
	v_sub_u32_e32 v6, 32, v0
	v_alignbit_b32 v0, v17, v10, v6
	v_cndmask_b32_e64 v14, v14, v13, s[18:19]
	v_cndmask_b32_e64 v0, v0, v17, s[24:25]
	v_alignbit_b32 v17, v10, v14, v6
	v_cndmask_b32_e64 v10, v17, v10, s[24:25]
	v_cndmask_b32_e64 v12, v12, v18, s[14:15]
	v_alignbit_b32 v17, v0, v10, 30
	v_bfe_i32 v21, v0, 29, 1
	v_cndmask_b32_e64 v12, v13, v12, s[18:19]
	v_xor_b32_e32 v17, v17, v21
	v_alignbit_b32 v6, v14, v12, v6
	v_cndmask_b32_e64 v6, v6, v14, s[24:25]
	v_ffbh_u32_e32 v13, v17
	v_alignbit_b32 v10, v10, v6, 30
	v_min_u32_e32 v13, 32, v13
	v_alignbit_b32 v6, v6, v12, 30
	v_xor_b32_e32 v10, v10, v21
	v_sub_u32_e32 v14, 31, v13
	v_xor_b32_e32 v6, v6, v21
	v_alignbit_b32 v17, v17, v10, v14
	v_alignbit_b32 v6, v10, v6, v14
	;; [unrolled: 1-line block ×3, first 2 shown]
	v_lshrrev_b32_e32 v20, 29, v0
	v_ffbh_u32_e32 v12, v10
	v_lshrrev_b32_e32 v0, 30, v0
	v_min_u32_e32 v12, 32, v12
	v_add_u32_e32 v0, v20, v0
	v_not_b32_e32 v14, v12
	buffer_store_dword v0, off, s[84:87], 0 offset:112 ; 4-byte Folded Spill
	v_mul_f32_e64 v0, |v44|, s71
	v_alignbit_b32 v6, v10, v6, v14
	v_lshlrev_b32_e32 v10, 31, v20
	v_rndne_f32_e32 v0, v0
	v_or_b32_e32 v14, 0x33000000, v10
	v_add_lshl_u32 v12, v12, v13, 23
	v_fma_f32 v63, v0, s72, |v44|
	v_lshrrev_b32_e32 v6, 9, v6
	v_sub_u32_e32 v12, v14, v12
	v_or_b32_e32 v10, 0.5, v10
	v_lshlrev_b32_e32 v13, 23, v13
	v_fmac_f32_e32 v63, 0xb3a22168, v0
	v_or_b32_e32 v6, v12, v6
	v_lshrrev_b32_e32 v12, 9, v17
	v_sub_u32_e32 v10, v10, v13
	v_fmac_f32_e32 v63, 0xa7c234c4, v0
	v_cvt_i32_f32_e32 v0, v0
	v_or_b32_e32 v10, v12, v10
	v_mul_f32_e32 v12, 0x3fc90fda, v10
	v_fma_f32 v13, v10, s70, -v12
	v_cmp_le_f32_e32 vcc, 0, v22
	v_fmac_f32_e32 v13, 0x33a22168, v10
	buffer_store_dword v0, off, s[84:87], 0 offset:116 ; 4-byte Folded Spill
	v_cndmask_b32_e64 v0, 0, 2, vcc
	v_cmp_le_f32_e32 vcc, 0, v23
	v_fmac_f32_e32 v13, 0x3fc90fda, v6
	v_cndmask_b32_e64 v6, 0, 1, vcc
	v_or_b32_e32 v0, v0, v6
	buffer_store_dword v0, off, s[84:87], 0 offset:52 ; 4-byte Folded Spill
	v_cmp_gt_f32_e32 vcc, s26, v24
	v_mul_f32_e32 v0, 0x4f800000, v24
	v_cndmask_b32_e32 v0, v24, v0, vcc
	v_sqrt_f32_e32 v6, v0
	v_add_f32_e32 v2, v12, v13
	v_add_f32_e32 v57, v24, v50
	v_and_b32_e32 v17, 0x7fffffff, v57
	v_add_u32_e32 v10, -1, v6
	v_fma_f32 v12, -v10, v6, v0
	v_cmp_ge_f32_e64 s[18:19], 0, v12
	v_add_u32_e32 v12, 1, v6
	v_cndmask_b32_e64 v10, v6, v10, s[18:19]
	v_fma_f32 v6, -v12, v6, v0
	v_cmp_lt_f32_e64 s[18:19], 0, v6
	v_cndmask_b32_e64 v6, v10, v12, s[18:19]
	v_mul_f32_e32 v10, 0x37800000, v6
	v_cndmask_b32_e32 v6, v6, v10, vcc
	v_cmp_class_f32_e32 vcc, v0, v5
	v_cndmask_b32_e32 v0, v6, v0, vcc
	buffer_store_dword v0, off, s[84:87], 0 offset:240 ; 4-byte Folded Spill
	v_mul_f32_e32 v0, 0.5, v50
	buffer_store_dword v0, off, s[84:87], 0 offset:244 ; 4-byte Folded Spill
	v_lshrrev_b32_e32 v0, 23, v17
	v_add_u32_e32 v0, 0xffffff88, v0
	v_cmp_lt_u32_e32 vcc, 63, v0
	v_cndmask_b32_e32 v5, 0, v39, vcc
	v_add_u32_e32 v0, v5, v0
	v_cmp_lt_u32_e64 s[24:25], 31, v0
	v_cndmask_b32_e64 v5, 0, v1, s[24:25]
	v_add_u32_e32 v0, v5, v0
	v_cmp_lt_u32_e64 s[26:27], 31, v0
	v_cndmask_b32_e64 v5, 0, v1, s[26:27]
	v_add_u32_e32 v0, v5, v0
	v_and_b32_e32 v5, 0x7fffff, v17
	v_or_b32_e32 v21, 0x800000, v5
	v_mad_u64_u32 v[18:19], s[30:31], v21, s63, 0
	v_cmp_eq_u32_e64 s[28:29], 0, v0
	buffer_store_dword v2, off, s[84:87], 0 offset:108 ; 4-byte Folded Spill
	v_mov_b32_e32 v10, v19
	v_mad_u64_u32 v[12:13], s[30:31], v21, s64, v[10:11]
	v_cmp_class_f32_e64 s[14:15], v44, s73
	v_cmp_lt_f32_e64 s[18:19], |v57|, s33
	v_mov_b32_e32 v10, v13
	v_mad_u64_u32 v[19:20], s[30:31], v21, s65, v[10:11]
	v_mov_b32_e32 v10, v20
	v_mad_u64_u32 v[13:14], s[30:31], v21, s66, v[10:11]
	v_cndmask_b32_e32 v18, v19, v18, vcc
	v_mov_b32_e32 v10, v14
	v_mad_u64_u32 v[5:6], s[30:31], v21, s67, v[10:11]
	v_mov_b32_e32 v10, v6
	v_mad_u64_u32 v[32:33], s[30:31], v21, s68, v[10:11]
	;; [unrolled: 2-line block ×3, first 2 shown]
	v_cndmask_b32_e32 v6, v32, v13, vcc
	v_cndmask_b32_e32 v10, v33, v5, vcc
	;; [unrolled: 1-line block ×3, first 2 shown]
	v_cndmask_b32_e64 v14, v10, v6, s[24:25]
	v_cndmask_b32_e64 v10, v20, v10, s[24:25]
	v_cndmask_b32_e32 v20, v5, v19, vcc
	v_cndmask_b32_e64 v6, v6, v20, s[24:25]
	v_cndmask_b32_e64 v10, v10, v14, s[26:27]
	;; [unrolled: 1-line block ×3, first 2 shown]
	v_sub_u32_e32 v5, 32, v0
	v_alignbit_b32 v0, v10, v14, v5
	v_cndmask_b32_e64 v0, v0, v10, s[28:29]
	v_cndmask_b32_e32 v10, v13, v12, vcc
	v_cndmask_b32_e64 v12, v20, v10, s[24:25]
	v_cndmask_b32_e64 v6, v6, v12, s[26:27]
	v_alignbit_b32 v13, v14, v6, v5
	v_cndmask_b32_e64 v13, v13, v14, s[28:29]
	v_bfe_u32 v21, v0, 29, 1
	v_cndmask_b32_e64 v10, v10, v18, s[24:25]
	v_alignbit_b32 v14, v0, v13, 30
	v_sub_u32_e32 v25, 0, v21
	v_cndmask_b32_e64 v10, v12, v10, s[26:27]
	v_xor_b32_e32 v14, v14, v25
	v_alignbit_b32 v5, v6, v10, v5
	v_cndmask_b32_e64 v5, v5, v6, s[28:29]
	v_ffbh_u32_e32 v12, v14
	v_alignbit_b32 v6, v13, v5, 30
	v_min_u32_e32 v12, 32, v12
	v_alignbit_b32 v5, v5, v10, 30
	v_xor_b32_e32 v6, v6, v25
	v_sub_u32_e32 v13, 31, v12
	v_xor_b32_e32 v5, v5, v25
	v_alignbit_b32 v14, v14, v6, v13
	v_alignbit_b32 v5, v6, v5, v13
	v_alignbit_b32 v6, v14, v5, 9
	v_ffbh_u32_e32 v10, v6
	v_min_u32_e32 v10, 32, v10
	v_lshrrev_b32_e32 v20, 29, v0
	v_not_b32_e32 v13, v10
	v_alignbit_b32 v5, v6, v5, v13
	v_lshlrev_b32_e32 v6, 31, v20
	v_or_b32_e32 v13, 0x33000000, v6
	v_add_lshl_u32 v10, v10, v12, 23
	v_lshrrev_b32_e32 v5, 9, v5
	v_sub_u32_e32 v10, v13, v10
	v_or_b32_e32 v6, 0.5, v6
	v_lshlrev_b32_e32 v12, 23, v12
	v_or_b32_e32 v5, v10, v5
	v_lshrrev_b32_e32 v10, 9, v14
	v_sub_u32_e32 v6, v6, v12
	v_or_b32_e32 v6, v10, v6
	v_mul_f32_e32 v10, 0x3fc90fda, v6
	v_lshrrev_b32_e32 v0, 30, v0
	v_fma_f32 v12, v6, s70, -v10
	v_add_u32_e32 v0, v21, v0
	v_fmac_f32_e32 v12, 0x33a22168, v6
	buffer_store_dword v0, off, s[84:87], 0 offset:124 ; 4-byte Folded Spill
	v_mul_f32_e64 v0, |v57|, s71
	v_fmac_f32_e32 v12, 0x3fc90fda, v5
	v_rndne_f32_e32 v0, v0
	v_add_f32_e32 v2, v10, v12
	v_fma_f32 v12, v0, s72, |v57|
	v_fmac_f32_e32 v12, 0xb3a22168, v0
	v_fmac_f32_e32 v12, 0xa7c234c4, v0
	v_cvt_i32_f32_e32 v0, v0
	v_sub_f32_e32 v5, v50, v24
	v_and_b32_e32 v6, 0x7fffffff, v5
	buffer_store_dword v2, off, s[84:87], 0 offset:120 ; 4-byte Folded Spill
	buffer_store_dword v0, off, s[84:87], 0 offset:128 ; 4-byte Folded Spill
	v_lshrrev_b32_e32 v0, 23, v6
	v_add_u32_e32 v0, 0xffffff88, v0
	v_cmp_lt_u32_e32 vcc, 63, v0
	v_cndmask_b32_e32 v10, 0, v39, vcc
	v_add_u32_e32 v0, v10, v0
	v_cmp_lt_u32_e64 s[28:29], 31, v0
	v_cndmask_b32_e64 v10, 0, v1, s[28:29]
	v_add_u32_e32 v0, v10, v0
	v_cmp_lt_u32_e64 s[30:31], 31, v0
	v_cndmask_b32_e64 v10, 0, v1, s[30:31]
	v_add_u32_e32 v0, v10, v0
	v_and_b32_e32 v10, 0x7fffff, v6
	v_or_b32_e32 v21, 0x800000, v10
	v_mad_u64_u32 v[18:19], s[38:39], v21, s63, 0
	v_cmp_eq_u32_e64 s[36:37], 0, v0
	v_cmp_class_f32_e64 s[24:25], v57, s73
	v_mov_b32_e32 v10, v19
	v_mad_u64_u32 v[13:14], s[38:39], v21, s64, v[10:11]
	v_cmp_lt_f32_e64 s[26:27], |v5|, s33
	v_mov_b32_e32 v10, v14
	v_mad_u64_u32 v[19:20], s[38:39], v21, s65, v[10:11]
	v_mov_b32_e32 v10, v20
	v_mad_u64_u32 v[32:33], s[38:39], v21, s66, v[10:11]
	v_cndmask_b32_e32 v18, v19, v18, vcc
	v_mov_b32_e32 v10, v33
	v_mad_u64_u32 v[33:34], s[38:39], v21, s67, v[10:11]
	v_cndmask_b32_e32 v13, v32, v13, vcc
	;; [unrolled: 3-line block ×4, first 2 shown]
	v_cndmask_b32_e32 v10, v51, v33, vcc
	v_cndmask_b32_e32 v21, v52, v58, vcc
	v_cndmask_b32_e64 v20, v10, v14, s[28:29]
	v_cndmask_b32_e64 v10, v21, v10, s[28:29]
	;; [unrolled: 1-line block ×5, first 2 shown]
	v_sub_u32_e32 v10, 32, v0
	v_alignbit_b32 v0, v21, v20, v10
	v_cndmask_b32_e64 v0, v0, v21, s[36:37]
	v_cndmask_b32_e64 v21, v25, v13, s[28:29]
	;; [unrolled: 1-line block ×3, first 2 shown]
	v_alignbit_b32 v25, v20, v14, v10
	v_cndmask_b32_e64 v20, v25, v20, s[36:37]
	v_bfe_u32 v28, v0, 29, 1
	v_cndmask_b32_e64 v13, v13, v18, s[28:29]
	v_alignbit_b32 v25, v0, v20, 30
	v_sub_u32_e32 v29, 0, v28
	v_cndmask_b32_e64 v13, v21, v13, s[30:31]
	v_xor_b32_e32 v25, v25, v29
	v_alignbit_b32 v10, v14, v13, v10
	v_cndmask_b32_e64 v10, v10, v14, s[36:37]
	v_ffbh_u32_e32 v18, v25
	v_alignbit_b32 v14, v20, v10, 30
	v_min_u32_e32 v18, 32, v18
	v_alignbit_b32 v10, v10, v13, 30
	v_xor_b32_e32 v14, v14, v29
	v_sub_u32_e32 v19, 31, v18
	v_xor_b32_e32 v10, v10, v29
	v_alignbit_b32 v20, v25, v14, v19
	v_alignbit_b32 v10, v14, v10, v19
	;; [unrolled: 1-line block ×3, first 2 shown]
	v_ffbh_u32_e32 v14, v13
	v_min_u32_e32 v14, 32, v14
	v_lshrrev_b32_e32 v26, 29, v0
	v_not_b32_e32 v19, v14
	v_alignbit_b32 v10, v13, v10, v19
	v_lshlrev_b32_e32 v13, 31, v26
	v_or_b32_e32 v19, 0x33000000, v13
	v_add_lshl_u32 v14, v14, v18, 23
	v_lshrrev_b32_e32 v0, 30, v0
	v_lshrrev_b32_e32 v10, 9, v10
	v_sub_u32_e32 v14, v19, v14
	v_or_b32_e32 v13, 0.5, v13
	v_lshlrev_b32_e32 v18, 23, v18
	v_add_u32_e32 v0, v28, v0
	v_or_b32_e32 v10, v14, v10
	v_lshrrev_b32_e32 v14, 9, v20
	v_sub_u32_e32 v13, v13, v18
	buffer_store_dword v0, off, s[84:87], 0 offset:148 ; 4-byte Folded Spill
	v_mul_f32_e64 v0, |v5|, s71
	v_or_b32_e32 v13, v14, v13
	v_rndne_f32_e32 v0, v0
	v_mul_f32_e32 v14, 0x3fc90fda, v13
	v_fma_f32 v36, v0, s72, |v5|
	v_fma_f32 v18, v13, s70, -v14
	v_fmac_f32_e32 v36, 0xb3a22168, v0
	v_fmac_f32_e32 v18, 0x33a22168, v13
	;; [unrolled: 1-line block ×3, first 2 shown]
	v_cvt_i32_f32_e32 v0, v0
	v_fmac_f32_e32 v18, 0x3fc90fda, v10
	v_add_f32_e32 v2, v14, v18
	buffer_store_dword v2, off, s[84:87], 0 offset:144 ; 4-byte Folded Spill
	v_and_b32_e32 v2, 0x7fffffff, v24
	buffer_store_dword v0, off, s[84:87], 0 offset:152 ; 4-byte Folded Spill
	v_lshrrev_b32_e32 v0, 23, v2
	v_add_u32_e32 v0, 0xffffff88, v0
	v_cmp_lt_u32_e32 vcc, 63, v0
	v_cndmask_b32_e32 v10, 0, v39, vcc
	v_add_u32_e32 v0, v10, v0
	v_cmp_lt_u32_e64 s[36:37], 31, v0
	v_cndmask_b32_e64 v10, 0, v1, s[36:37]
	v_add_u32_e32 v0, v10, v0
	v_cmp_lt_u32_e64 s[38:39], 31, v0
	v_cndmask_b32_e64 v10, 0, v1, s[38:39]
	v_add_u32_e32 v0, v10, v0
	v_and_b32_e32 v10, 0x7fffff, v2
	v_or_b32_e32 v21, 0x800000, v10
	v_mad_u64_u32 v[18:19], s[46:47], v21, s63, 0
	v_cmp_eq_u32_e64 s[40:41], 0, v0
	v_cmp_class_f32_e64 s[28:29], v5, s73
	v_mov_b32_e32 v10, v19
	v_mad_u64_u32 v[13:14], s[46:47], v21, s64, v[10:11]
	v_cmp_lt_f32_e64 s[30:31], |v24|, s33
	v_mov_b32_e32 v10, v14
	v_mad_u64_u32 v[19:20], s[46:47], v21, s65, v[10:11]
	v_mov_b32_e32 v10, v20
	v_mad_u64_u32 v[32:33], s[46:47], v21, s66, v[10:11]
	v_cndmask_b32_e32 v18, v19, v18, vcc
	v_mov_b32_e32 v10, v33
	v_mad_u64_u32 v[33:34], s[46:47], v21, s67, v[10:11]
	v_cndmask_b32_e32 v13, v32, v13, vcc
	v_mov_b32_e32 v10, v34
	v_mad_u64_u32 v[51:52], s[46:47], v21, s68, v[10:11]
	v_cndmask_b32_e32 v25, v33, v19, vcc
	v_mov_b32_e32 v10, v52
	v_mad_u64_u32 v[58:59], s[46:47], v21, s69, v[10:11]
	v_cndmask_b32_e32 v14, v51, v32, vcc
	v_cndmask_b32_e32 v10, v58, v33, vcc
	v_cndmask_b32_e32 v21, v59, v51, vcc
	v_cndmask_b32_e64 v20, v10, v14, s[36:37]
	v_cndmask_b32_e64 v10, v21, v10, s[36:37]
	;; [unrolled: 1-line block ×5, first 2 shown]
	v_sub_u32_e32 v10, 32, v0
	v_alignbit_b32 v0, v21, v20, v10
	v_cndmask_b32_e64 v0, v0, v21, s[40:41]
	v_cndmask_b32_e64 v21, v25, v13, s[36:37]
	;; [unrolled: 1-line block ×3, first 2 shown]
	v_alignbit_b32 v25, v20, v14, v10
	v_cndmask_b32_e64 v20, v25, v20, s[40:41]
	v_alignbit_b32 v25, v0, v20, 30
	v_lshrrev_b32_e32 v26, 29, v0
	v_bfe_u32 v28, v0, 29, 1
	v_lshrrev_b32_e32 v0, 30, v0
	v_add_u32_e32 v0, v28, v0
	buffer_store_dword v0, off, s[84:87], 0 offset:172 ; 4-byte Folded Spill
	v_mul_f32_e64 v0, |v24|, s71
	v_rndne_f32_e32 v0, v0
	v_fma_f32 v46, v0, s72, |v24|
	v_fmac_f32_e32 v46, 0xb3a22168, v0
	v_fmac_f32_e32 v46, 0xa7c234c4, v0
	v_cvt_i32_f32_e32 v0, v0
	v_cndmask_b32_e64 v13, v13, v18, s[36:37]
	v_sub_u32_e32 v29, 0, v28
	v_cndmask_b32_e64 v13, v21, v13, s[38:39]
	v_xor_b32_e32 v25, v25, v29
	v_alignbit_b32 v10, v14, v13, v10
	v_cndmask_b32_e64 v10, v10, v14, s[40:41]
	v_ffbh_u32_e32 v18, v25
	buffer_store_dword v0, off, s[84:87], 0 offset:176 ; 4-byte Folded Spill
	v_div_scale_f32 v0, s[38:39], s42, s42, v50
	v_alignbit_b32 v14, v20, v10, 30
	v_min_u32_e32 v18, 32, v18
	v_alignbit_b32 v10, v10, v13, 30
	v_xor_b32_e32 v14, v14, v29
	v_sub_u32_e32 v19, 31, v18
	v_xor_b32_e32 v10, v10, v29
	v_alignbit_b32 v20, v25, v14, v19
	v_alignbit_b32 v10, v14, v10, v19
	;; [unrolled: 1-line block ×3, first 2 shown]
	v_ffbh_u32_e32 v14, v13
	v_min_u32_e32 v14, 32, v14
	v_not_b32_e32 v19, v14
	v_alignbit_b32 v10, v13, v10, v19
	v_lshlrev_b32_e32 v13, 31, v26
	v_or_b32_e32 v19, 0x33000000, v13
	v_add_lshl_u32 v14, v14, v18, 23
	v_lshrrev_b32_e32 v10, 9, v10
	v_sub_u32_e32 v14, v19, v14
	v_or_b32_e32 v13, 0.5, v13
	v_lshlrev_b32_e32 v18, 23, v18
	v_or_b32_e32 v10, v14, v10
	v_lshrrev_b32_e32 v14, 9, v20
	v_sub_u32_e32 v13, v13, v18
	v_or_b32_e32 v13, v14, v13
	v_mul_f32_e32 v14, 0x3fc90fda, v13
	v_fma_f32 v18, v13, s70, -v14
	v_fmac_f32_e32 v18, 0x33a22168, v13
	v_fmac_f32_e32 v18, 0x3fc90fda, v10
	v_rcp_f32_e32 v10, v0
	v_add_f32_e32 v2, v14, v18
	v_and_b32_e32 v59, 0x7fffffff, v62
	buffer_store_dword v2, off, s[84:87], 0 offset:168 ; 4-byte Folded Spill
	v_fma_f32 v13, -v0, v10, 1.0
	v_fmac_f32_e32 v10, v13, v10
	v_div_scale_f32 v13, vcc, v50, s42, v50
	v_cmp_class_f32_e64 s[36:37], v24, s73
	v_cmp_lt_f32_e64 s[38:39], |v62|, s33
	v_mul_f32_e32 v14, v13, v10
	v_fma_f32 v18, -v0, v14, v13
	v_fmac_f32_e32 v14, v18, v10
	v_fma_f32 v0, -v0, v14, v13
	v_div_fmas_f32 v0, v0, v10, v14
	v_div_fixup_f32 v2, v0, s42, v50
	v_lshrrev_b32_e32 v0, 23, v59
	v_add_u32_e32 v0, 0xffffff88, v0
	v_cmp_lt_u32_e32 vcc, 63, v0
	v_cndmask_b32_e32 v10, 0, v39, vcc
	v_add_u32_e32 v0, v10, v0
	v_cmp_lt_u32_e64 s[40:41], 31, v0
	v_cndmask_b32_e64 v10, 0, v1, s[40:41]
	v_add_u32_e32 v0, v10, v0
	v_cmp_lt_u32_e64 s[42:43], 31, v0
	v_cndmask_b32_e64 v10, 0, v1, s[42:43]
	v_add_u32_e32 v0, v10, v0
	v_and_b32_e32 v10, 0x7fffff, v59
	v_or_b32_e32 v21, 0x800000, v10
	v_mad_u64_u32 v[18:19], s[50:51], v21, s63, 0
	v_cmp_eq_u32_e64 s[46:47], 0, v0
	v_mov_b32_e32 v10, v19
	v_mad_u64_u32 v[13:14], s[50:51], v21, s64, v[10:11]
	v_mov_b32_e32 v10, v14
	v_mad_u64_u32 v[19:20], s[50:51], v21, s65, v[10:11]
	;; [unrolled: 2-line block ×3, first 2 shown]
	v_cndmask_b32_e32 v18, v19, v18, vcc
	v_mov_b32_e32 v10, v33
	v_mad_u64_u32 v[33:34], s[50:51], v21, s67, v[10:11]
	v_cndmask_b32_e32 v13, v32, v13, vcc
	v_mov_b32_e32 v10, v34
	v_mad_u64_u32 v[51:52], s[50:51], v21, s68, v[10:11]
	v_and_b32_e32 v34, 0x7fffffff, v3
	v_mov_b32_e32 v10, v52
	v_mad_u64_u32 v[25:26], s[50:51], v21, s69, v[10:11]
	v_cndmask_b32_e32 v14, v51, v32, vcc
	v_cndmask_b32_e32 v10, v25, v33, vcc
	;; [unrolled: 1-line block ×4, first 2 shown]
	v_cndmask_b32_e64 v20, v10, v14, s[40:41]
	v_cndmask_b32_e64 v10, v21, v10, s[40:41]
	;; [unrolled: 1-line block ×5, first 2 shown]
	v_sub_u32_e32 v10, 32, v0
	v_alignbit_b32 v0, v21, v20, v10
	v_cndmask_b32_e64 v0, v0, v21, s[46:47]
	v_cndmask_b32_e64 v21, v25, v13, s[40:41]
	;; [unrolled: 1-line block ×3, first 2 shown]
	v_alignbit_b32 v25, v20, v14, v10
	v_cndmask_b32_e64 v20, v25, v20, s[46:47]
	v_bfe_u32 v28, v0, 29, 1
	v_cndmask_b32_e64 v13, v13, v18, s[40:41]
	v_alignbit_b32 v25, v0, v20, 30
	v_sub_u32_e32 v29, 0, v28
	v_cndmask_b32_e64 v13, v21, v13, s[42:43]
	v_xor_b32_e32 v25, v25, v29
	v_alignbit_b32 v10, v14, v13, v10
	v_cndmask_b32_e64 v10, v10, v14, s[46:47]
	v_ffbh_u32_e32 v18, v25
	v_alignbit_b32 v14, v20, v10, 30
	v_min_u32_e32 v18, 32, v18
	v_alignbit_b32 v10, v10, v13, 30
	v_xor_b32_e32 v14, v14, v29
	v_sub_u32_e32 v19, 31, v18
	v_xor_b32_e32 v10, v10, v29
	v_alignbit_b32 v20, v25, v14, v19
	v_alignbit_b32 v10, v14, v10, v19
	;; [unrolled: 1-line block ×3, first 2 shown]
	v_lshrrev_b32_e32 v26, 29, v0
	v_ffbh_u32_e32 v14, v13
	v_lshrrev_b32_e32 v0, 30, v0
	v_min_u32_e32 v14, 32, v14
	v_add_u32_e32 v0, v28, v0
	v_not_b32_e32 v19, v14
	buffer_store_dword v0, off, s[84:87], 0 offset:192 ; 4-byte Folded Spill
	v_mul_f32_e64 v0, |v62|, s71
	v_alignbit_b32 v10, v13, v10, v19
	v_lshlrev_b32_e32 v13, 31, v26
	v_rndne_f32_e32 v0, v0
	v_or_b32_e32 v19, 0x33000000, v13
	v_add_lshl_u32 v14, v14, v18, 23
	v_fma_f32 v58, v0, s72, |v62|
	v_lshrrev_b32_e32 v10, 9, v10
	v_sub_u32_e32 v14, v19, v14
	v_or_b32_e32 v13, 0.5, v13
	v_lshlrev_b32_e32 v18, 23, v18
	v_fmac_f32_e32 v58, 0xb3a22168, v0
	v_or_b32_e32 v10, v14, v10
	v_lshrrev_b32_e32 v14, 9, v20
	v_sub_u32_e32 v13, v13, v18
	v_fmac_f32_e32 v58, 0xa7c234c4, v0
	v_cvt_i32_f32_e32 v0, v0
	v_or_b32_e32 v13, v14, v13
	v_mul_f32_e32 v14, 0x3fc90fda, v13
	v_fma_f32 v18, v13, s70, -v14
	v_and_b32_e32 v33, 0x7fffffff, v38
	v_fmac_f32_e32 v18, 0x33a22168, v13
	buffer_store_dword v0, off, s[84:87], 0 offset:196 ; 4-byte Folded Spill
	v_lshrrev_b32_e32 v0, 23, v33
	v_fmac_f32_e32 v18, 0x3fc90fda, v10
	v_add_u32_e32 v0, 0xffffff88, v0
	v_add_f32_e32 v10, v14, v18
	v_cmp_lt_u32_e32 vcc, 63, v0
	buffer_store_dword v10, off, s[84:87], 0 offset:188 ; 4-byte Folded Spill
	v_cndmask_b32_e32 v10, 0, v39, vcc
	v_add_u32_e32 v0, v10, v0
	v_cmp_lt_u32_e64 s[46:47], 31, v0
	v_cndmask_b32_e64 v10, 0, v1, s[46:47]
	v_add_u32_e32 v0, v10, v0
	v_cmp_lt_u32_e64 s[50:51], 31, v0
	v_cndmask_b32_e64 v10, 0, v1, s[50:51]
	v_add_u32_e32 v0, v10, v0
	v_and_b32_e32 v10, 0x7fffff, v33
	v_or_b32_e32 v21, 0x800000, v10
	v_mad_u64_u32 v[18:19], s[54:55], v21, s63, 0
	v_cmp_eq_u32_e64 s[52:53], 0, v0
	v_cmp_class_f32_e64 s[40:41], v62, s73
	v_mov_b32_e32 v10, v19
	v_mad_u64_u32 v[13:14], s[54:55], v21, s64, v[10:11]
	v_cmp_lt_f32_e64 s[42:43], |v38|, s33
	v_mov_b32_e32 v10, v14
	v_mad_u64_u32 v[19:20], s[54:55], v21, s65, v[10:11]
	v_mov_b32_e32 v10, v20
	v_mad_u64_u32 v[25:26], s[54:55], v21, s66, v[10:11]
	v_cndmask_b32_e32 v18, v19, v18, vcc
	v_mov_b32_e32 v10, v26
	v_mad_u64_u32 v[51:52], s[54:55], v21, s67, v[10:11]
	v_cndmask_b32_e32 v13, v25, v13, vcc
	;; [unrolled: 3-line block ×4, first 2 shown]
	v_cndmask_b32_e32 v10, v52, v51, vcc
	v_cndmask_b32_e32 v21, v53, v31, vcc
	v_cndmask_b32_e64 v20, v10, v14, s[46:47]
	v_cndmask_b32_e64 v10, v21, v10, s[46:47]
	;; [unrolled: 1-line block ×5, first 2 shown]
	v_sub_u32_e32 v10, 32, v0
	v_alignbit_b32 v0, v21, v20, v10
	v_cndmask_b32_e64 v0, v0, v21, s[52:53]
	v_cndmask_b32_e64 v21, v26, v13, s[46:47]
	;; [unrolled: 1-line block ×3, first 2 shown]
	v_alignbit_b32 v25, v20, v14, v10
	v_cndmask_b32_e64 v20, v25, v20, s[52:53]
	v_bfe_u32 v28, v0, 29, 1
	v_cndmask_b32_e64 v13, v13, v18, s[46:47]
	v_alignbit_b32 v25, v0, v20, 30
	v_sub_u32_e32 v29, 0, v28
	v_cndmask_b32_e64 v13, v21, v13, s[50:51]
	v_xor_b32_e32 v25, v25, v29
	v_alignbit_b32 v10, v14, v13, v10
	v_cndmask_b32_e64 v10, v10, v14, s[52:53]
	v_ffbh_u32_e32 v18, v25
	v_alignbit_b32 v14, v20, v10, 30
	v_min_u32_e32 v18, 32, v18
	v_alignbit_b32 v10, v10, v13, 30
	v_xor_b32_e32 v14, v14, v29
	v_sub_u32_e32 v19, 31, v18
	v_xor_b32_e32 v10, v10, v29
	v_alignbit_b32 v20, v25, v14, v19
	v_alignbit_b32 v10, v14, v10, v19
	;; [unrolled: 1-line block ×3, first 2 shown]
	v_ffbh_u32_e32 v14, v13
	v_min_u32_e32 v14, 32, v14
	v_lshrrev_b32_e32 v26, 29, v0
	v_not_b32_e32 v19, v14
	v_alignbit_b32 v10, v13, v10, v19
	v_lshlrev_b32_e32 v13, 31, v26
	v_or_b32_e32 v19, 0x33000000, v13
	v_add_lshl_u32 v14, v14, v18, 23
	v_lshrrev_b32_e32 v10, 9, v10
	v_sub_u32_e32 v14, v19, v14
	v_or_b32_e32 v13, 0.5, v13
	v_lshlrev_b32_e32 v18, 23, v18
	v_or_b32_e32 v10, v14, v10
	v_lshrrev_b32_e32 v14, 9, v20
	v_sub_u32_e32 v13, v13, v18
	v_or_b32_e32 v13, v14, v13
	v_mul_f32_e32 v14, 0x3fc90fda, v13
	v_fma_f32 v18, v13, s70, -v14
	v_fmac_f32_e32 v18, 0x33a22168, v13
	v_lshrrev_b32_e32 v0, 30, v0
	v_fmac_f32_e32 v18, 0x3fc90fda, v10
	v_add_u32_e32 v0, v28, v0
	v_add_f32_e32 v10, v14, v18
	buffer_store_dword v0, off, s[84:87], 0 offset:204 ; 4-byte Folded Spill
	v_mul_f32_e64 v0, |v38|, s71
	buffer_store_dword v10, off, s[84:87], 0 offset:200 ; 4-byte Folded Spill
	v_rndne_f32_e32 v10, v0
	v_fma_f32 v0, v10, s72, |v38|
	v_fmac_f32_e32 v0, 0xb3a22168, v10
	v_fmac_f32_e32 v0, 0xa7c234c4, v10
	v_cvt_i32_f32_e32 v10, v10
	v_add_f32_e32 v13, v22, v23
	v_mov_b32_e32 v25, 0xbe2aaa9d
	v_cmp_class_f32_e64 s[46:47], v38, s73
	buffer_store_dword v10, off, s[84:87], 0 offset:216 ; 4-byte Folded Spill
	v_sub_f32_e32 v10, v22, v23
	v_mul_f32_e32 v10, v10, v13
	v_mul_f32_e32 v10, v10, v7
	buffer_store_dword v10, off, s[84:87], 0 offset:248 ; 4-byte Folded Spill
	v_mul_f32_e32 v10, v49, v23
	v_mul_f32_e32 v7, v10, v7
	buffer_store_dword v7, off, s[84:87], 0 offset:252 ; 4-byte Folded Spill
	v_lshrrev_b32_e32 v7, 23, v34
	v_add_u32_e32 v7, 0xffffff88, v7
	v_cmp_lt_u32_e32 vcc, 63, v7
	v_cndmask_b32_e32 v10, 0, v39, vcc
	v_add_u32_e32 v7, v10, v7
	v_cmp_lt_u32_e64 s[52:53], 31, v7
	v_cndmask_b32_e64 v10, 0, v1, s[52:53]
	v_add_u32_e32 v7, v10, v7
	v_cmp_lt_u32_e64 s[54:55], 31, v7
	v_cndmask_b32_e64 v10, 0, v1, s[54:55]
	v_add_u32_e32 v7, v10, v7
	v_and_b32_e32 v10, 0x7fffff, v34
	v_or_b32_e32 v21, 0x800000, v10
	v_mad_u64_u32 v[18:19], s[80:81], v21, s63, 0
	v_cmp_eq_u32_e64 s[56:57], 0, v7
	v_cmp_lt_f32_e64 s[50:51], |v3|, s33
	v_mov_b32_e32 v10, v19
	v_mad_u64_u32 v[13:14], s[80:81], v21, s64, v[10:11]
	v_mov_b32_e32 v10, v14
	v_mad_u64_u32 v[19:20], s[80:81], v21, s65, v[10:11]
	;; [unrolled: 2-line block ×3, first 2 shown]
	v_cndmask_b32_e32 v18, v19, v18, vcc
	v_mov_b32_e32 v10, v52
	v_mad_u64_u32 v[28:29], s[80:81], v21, s67, v[10:11]
	v_cndmask_b32_e32 v13, v51, v13, vcc
	v_mov_b32_e32 v10, v29
	v_mad_u64_u32 v[55:56], s[80:81], v21, s68, v[10:11]
	;; [unrolled: 3-line block ×3, first 2 shown]
	v_cndmask_b32_e32 v14, v55, v51, vcc
	v_mov_b32_e32 v51, 0x3d2aabf7
	v_cndmask_b32_e32 v10, v20, v28, vcc
	v_cndmask_b32_e32 v21, v21, v55, vcc
	v_cndmask_b32_e64 v20, v10, v14, s[52:53]
	v_cndmask_b32_e64 v10, v21, v10, s[52:53]
	;; [unrolled: 1-line block ×5, first 2 shown]
	v_sub_u32_e32 v10, 32, v7
	v_alignbit_b32 v7, v21, v20, v10
	v_cndmask_b32_e64 v7, v7, v21, s[56:57]
	v_cndmask_b32_e64 v21, v26, v13, s[52:53]
	v_cndmask_b32_e64 v14, v14, v21, s[54:55]
	v_alignbit_b32 v26, v20, v14, v10
	v_cndmask_b32_e64 v20, v26, v20, s[56:57]
	v_bfe_u32 v29, v7, 29, 1
	v_cndmask_b32_e64 v13, v13, v18, s[52:53]
	v_alignbit_b32 v26, v7, v20, 30
	v_sub_u32_e32 v32, 0, v29
	v_cndmask_b32_e64 v13, v21, v13, s[54:55]
	v_xor_b32_e32 v26, v26, v32
	v_alignbit_b32 v10, v14, v13, v10
	v_cndmask_b32_e64 v10, v10, v14, s[56:57]
	v_ffbh_u32_e32 v18, v26
	v_alignbit_b32 v14, v20, v10, 30
	v_min_u32_e32 v18, 32, v18
	v_alignbit_b32 v10, v10, v13, 30
	v_xor_b32_e32 v14, v14, v32
	v_sub_u32_e32 v19, 31, v18
	v_xor_b32_e32 v10, v10, v32
	v_alignbit_b32 v20, v26, v14, v19
	v_alignbit_b32 v10, v14, v10, v19
	;; [unrolled: 1-line block ×3, first 2 shown]
	v_ffbh_u32_e32 v14, v13
	v_min_u32_e32 v14, 32, v14
	v_lshrrev_b32_e32 v28, 29, v7
	v_not_b32_e32 v19, v14
	v_alignbit_b32 v10, v13, v10, v19
	v_lshlrev_b32_e32 v13, 31, v28
	v_or_b32_e32 v19, 0x33000000, v13
	v_add_lshl_u32 v14, v14, v18, 23
	v_lshrrev_b32_e32 v10, 9, v10
	v_sub_u32_e32 v14, v19, v14
	v_or_b32_e32 v13, 0.5, v13
	v_lshlrev_b32_e32 v18, 23, v18
	v_or_b32_e32 v10, v14, v10
	v_lshrrev_b32_e32 v14, 9, v20
	v_sub_u32_e32 v13, v13, v18
	v_or_b32_e32 v13, v14, v13
	v_mul_f32_e32 v14, 0x3fc90fda, v13
	v_fma_f32 v18, v13, s70, -v14
	v_fmac_f32_e32 v18, 0x33a22168, v13
	v_fmac_f32_e32 v18, 0x3fc90fda, v10
	v_div_scale_f32 v10, s[54:55], v3, v3, v22
	v_add_f32_e32 v14, v14, v18
	v_mov_b32_e32 v26, 0xbf000004
	v_lshrrev_b32_e32 v7, 30, v7
	v_add_u32_e32 v13, v29, v7
	v_mov_b32_e32 v29, 0x3c0881c4
	v_mul_f32_e64 v7, |v3|, s71
	v_rndne_f32_e32 v7, v7
	v_fma_f32 v32, v7, s72, |v3|
	v_fmac_f32_e32 v32, 0xb3a22168, v7
	v_fmac_f32_e32 v32, 0xa7c234c4, v7
	v_cvt_i32_f32_e32 v7, v7
	v_cmp_class_f32_e64 s[52:53], v3, s73
	v_rcp_f32_e32 v18, v10
	v_fma_f32 v19, -v10, v18, 1.0
	v_fmac_f32_e32 v18, v19, v18
	v_div_scale_f32 v19, vcc, v22, v3, v22
	v_mul_f32_e32 v20, v19, v18
	v_fma_f32 v21, -v10, v20, v19
	v_fmac_f32_e32 v20, v21, v18
	v_fma_f32 v10, -v10, v20, v19
	v_div_fmas_f32 v10, v10, v18, v20
	v_div_fixup_f32 v10, v10, v3, v22
	buffer_store_dword v10, off, s[84:87], 0 offset:256 ; 4-byte Folded Spill
	v_div_scale_f32 v10, s[54:55], v3, v3, v23
	v_rcp_f32_e32 v18, v10
	v_fma_f32 v19, -v10, v18, 1.0
	v_fmac_f32_e32 v18, v19, v18
	v_div_scale_f32 v19, vcc, v23, v3, v23
	v_mul_f32_e32 v20, v19, v18
	v_fma_f32 v21, -v10, v20, v19
	v_fmac_f32_e32 v20, v21, v18
	v_fma_f32 v10, -v10, v20, v19
	v_div_fmas_f32 v10, v10, v18, v20
	v_mov_b32_e32 v20, 0x3c0881c4
	v_and_b32_e32 v21, 0x7fffffff, v22
	v_div_fixup_f32 v10, v10, v3, v23
	buffer_store_dword v10, off, s[84:87], 0 offset:260 ; 4-byte Folded Spill
	buffer_load_dword v10, off, s[84:87], 0 offset:8 ; 4-byte Folded Reload
	s_nop 0
	buffer_load_dword v18, off, s[84:87], 0 offset:20 ; 4-byte Folded Reload
	buffer_load_dword v19, off, s[84:87], 0 offset:56 ; 4-byte Folded Reload
	s_waitcnt vmcnt(2)
	v_cndmask_b32_e64 v10, v10, v35, s[0:1]
	s_waitcnt vmcnt(0)
	v_cndmask_b32_e64 v18, v18, v19, s[0:1]
	v_mul_f32_e32 v19, v10, v10
	v_fmac_f32_e32 v20, 0xb94c1982, v19
	v_mov_b32_e32 v35, 0xbe2aaa9d
	v_fma_f32 v20, v19, v20, v35
	v_mul_f32_e32 v20, v19, v20
	v_fmac_f32_e32 v10, v10, v20
	v_mov_b32_e32 v20, 0xbab64f3b
	v_fmac_f32_e32 v20, 0x37d75334, v19
	v_fma_f32 v20, v19, v20, v51
	v_fma_f32 v20, v19, v20, v26
	v_fma_f32 v19, v19, v20, 1.0
	v_and_b32_e32 v20, 1, v18
	v_lshlrev_b32_e32 v18, 30, v18
	v_and_b32_e32 v18, 0x80000000, v18
	v_cmp_eq_u32_e64 s[0:1], 0, v20
	v_or_b32_e32 v21, v18, v21
	v_cndmask_b32_e64 v20, v19, v10, s[0:1]
	v_xor_b32_e32 v21, v21, v22
	v_xor_b32_e32 v20, v21, v20
	v_cndmask_b32_e64 v31, v60, v20, s[2:3]
	v_cndmask_b32_e64 v20, v48, v43, s[4:5]
	buffer_load_dword v48, off, s[84:87], 0 offset:68 ; 4-byte Folded Reload
	buffer_load_dword v21, off, s[84:87], 0 offset:64 ; 4-byte Folded Reload
	v_mul_f32_e32 v28, v20, v20
	v_fmac_f32_e32 v29, 0xb94c1982, v28
	v_fma_f32 v29, v28, v29, v35
	v_mov_b32_e32 v35, 0xbab64f3b
	v_fmac_f32_e32 v35, 0x37d75334, v28
	v_fma_f32 v35, v28, v35, v51
	v_mul_f32_e32 v29, v28, v29
	v_fma_f32 v35, v28, v35, v26
	v_fma_f32 v29, v20, v29, v20
	v_fma_f32 v35, v28, v35, 1.0
	buffer_store_dword v31, off, s[84:87], 0 offset:20 ; 4-byte Folded Spill
	v_cndmask_b32_e64 v10, -v10, v19, s[0:1]
	v_xor_b32_e32 v10, v18, v10
	v_cndmask_b32_e64 v10, v60, v10, s[2:3]
	buffer_store_dword v10, off, s[84:87], 0 offset:272 ; 4-byte Folded Spill
	s_waitcnt vmcnt(2)
	v_cndmask_b32_e64 v21, v21, v48, s[4:5]
	v_and_b32_e32 v43, 1, v21
	v_cmp_eq_u32_e64 s[54:55], 0, v43
	v_lshlrev_b32_e32 v21, 30, v21
	v_cndmask_b32_e64 v43, -v29, v35, s[54:55]
	v_and_b32_e32 v21, 0x80000000, v21
	v_xor_b32_e32 v43, v21, v43
	v_cndmask_b32_e64 v43, v60, v43, s[6:7]
	v_div_scale_f32 v55, s[56:57], v43, v43, v31
	v_cndmask_b32_e64 v10, v35, v29, s[54:55]
	v_rcp_f32_e32 v56, v55
	v_fma_f32 v49, -v55, v56, 1.0
	v_fmac_f32_e32 v56, v49, v56
	v_div_scale_f32 v49, vcc, v31, v43, v31
	v_mul_f32_e32 v52, v49, v56
	v_fma_f32 v53, -v55, v52, v49
	v_fmac_f32_e32 v52, v53, v56
	v_fma_f32 v49, -v55, v52, v49
	v_div_fmas_f32 v49, v49, v56, v52
	v_mov_b32_e32 v55, 0xbf039337
	v_fmac_f32_e32 v55, 0x3c971480, v28
	v_mov_b32_e32 v56, 0x3f93f425
	v_fma_f32 v55, v28, v55, v56
	v_rcp_f32_e32 v55, v55
	v_mov_b32_e32 v53, 0x3ec54587
	v_fmac_f32_e32 v53, 0xbc8cedd3, v28
	v_mul_f32_e32 v53, v53, v55
	v_mul_f32_e32 v28, v28, v53
	v_fma_f32 v53, v28, v20, v20
	v_sub_f32_e32 v55, v53, v20
	v_fma_f32 v20, v28, v20, -v55
	v_rcp_f32_e32 v28, v53
	v_div_fixup_f32 v31, v49, v43, v31
	buffer_store_dword v31, off, s[84:87], 0 offset:264 ; 4-byte Folded Spill
	buffer_load_dword v31, off, s[84:87], 0 offset:60 ; 4-byte Folded Reload
	v_fma_f32 v55, v53, -v28, 1.0
	v_fma_f32 v20, v20, -v28, v55
	v_fma_f32 v20, v20, -v28, -v28
	v_and_b32_e32 v28, 0x7fffffff, v23
	v_or_b32_e32 v18, v21, v28
	v_xor_b32_e32 v10, v18, v10
	v_xor_b32_e32 v10, v10, v23
	v_cndmask_b32_e64 v10, v60, v10, s[6:7]
	buffer_store_dword v10, off, s[84:87], 0 offset:8 ; 4-byte Folded Spill
	buffer_load_dword v10, off, s[84:87], 0 offset:96 ; 4-byte Folded Reload
	v_mov_b32_e32 v49, 0xbf039337
	s_waitcnt vmcnt(2)
	v_cndmask_b32_e64 v43, v31, v48, s[4:5]
	v_and_b32_e32 v52, 1, v43
	v_cmp_eq_u32_e32 vcc, 0, v52
	v_cndmask_b32_e32 v20, v20, v53, vcc
	v_xor_b32_e32 v20, v23, v20
	v_xor_b32_e32 v20, v20, v28
	v_cndmask_b32_e64 v20, v60, v20, s[6:7]
	buffer_store_dword v20, off, s[84:87], 0 offset:268 ; 4-byte Folded Spill
	buffer_load_dword v18, off, s[84:87], 0 offset:100 ; 4-byte Folded Reload
	buffer_load_dword v19, off, s[84:87], 0 offset:104 ; 4-byte Folded Reload
	v_mov_b32_e32 v20, 0x3c0881c4
	s_waitcnt vmcnt(3)
	v_cndmask_b32_e64 v10, v10, v47, s[8:9]
	v_mov_b32_e32 v28, 0x3c0881c4
	s_mov_b32 s6, 0x3f2aaaab
	v_mov_b32_e32 v43, 0x3ec54587
	v_mov_b32_e32 v31, 0x7f800000
	s_waitcnt vmcnt(0)
	v_cndmask_b32_e64 v18, v18, v19, s[8:9]
	v_mul_f32_e32 v19, v10, v10
	v_fmac_f32_e32 v20, 0xb94c1982, v19
	v_fma_f32 v20, v19, v20, v25
	v_mul_f32_e32 v20, v19, v20
	v_fmac_f32_e32 v10, v10, v20
	v_mov_b32_e32 v20, 0xbab64f3b
	v_fmac_f32_e32 v20, 0x37d75334, v19
	v_fma_f32 v20, v19, v20, v51
	v_fma_f32 v20, v19, v20, v26
	v_fma_f32 v19, v19, v20, 1.0
	v_and_b32_e32 v20, 1, v18
	v_cmp_eq_u32_e32 vcc, 0, v20
	v_cndmask_b32_e64 v20, -v10, v19, vcc
	v_cndmask_b32_e32 v10, v19, v10, vcc
	v_lshlrev_b32_e32 v18, 30, v18
	v_xor_b32_e32 v19, v10, v50
	v_and_b32_e32 v18, 0x80000000, v18
	v_xor_b32_e32 v19, v19, v37
	v_xor_b32_e32 v19, v19, v18
	;; [unrolled: 1-line block ×3, first 2 shown]
	v_cndmask_b32_e64 v53, v60, v19, s[10:11]
	buffer_load_dword v19, off, s[84:87], 0 offset:156 ; 4-byte Folded Reload
	v_cndmask_b32_e64 v52, v60, v20, s[10:11]
	buffer_load_dword v20, off, s[84:87], 0 offset:160 ; 4-byte Folded Reload
	buffer_load_dword v21, off, s[84:87], 0 offset:164 ; 4-byte Folded Reload
	;; [unrolled: 1-line block ×3, first 2 shown]
	s_waitcnt vmcnt(3)
	v_cndmask_b32_e64 v19, v19, v30, s[20:21]
	s_waitcnt vmcnt(1)
	v_cndmask_b32_e64 v20, v20, v21, s[20:21]
	v_mul_f32_e32 v21, v19, v19
	v_fmac_f32_e32 v28, 0xb94c1982, v21
	v_fma_f32 v28, v21, v28, v25
	v_mul_f32_e32 v28, v21, v28
	v_fmac_f32_e32 v19, v19, v28
	v_mov_b32_e32 v28, 0xbab64f3b
	v_fmac_f32_e32 v28, 0x37d75334, v21
	v_fma_f32 v28, v21, v28, v51
	v_fma_f32 v28, v21, v28, v26
	v_fma_f32 v21, v21, v28, 1.0
	v_and_b32_e32 v28, 1, v20
	v_cmp_eq_u32_e32 vcc, 0, v28
	v_cndmask_b32_e64 v28, -v19, v21, vcc
	v_cndmask_b32_e32 v19, v21, v19, vcc
	v_lshlrev_b32_e32 v20, 30, v20
	v_xor_b32_e32 v15, v15, v19
	v_and_b32_e32 v20, 0x80000000, v20
	v_xor_b32_e32 v4, v15, v4
	v_xor_b32_e32 v4, v4, v20
	v_mov_b32_e32 v15, 0xffc00000
	v_cndmask_b32_e64 v4, v15, -v4, s[34:35]
	buffer_load_dword v15, off, s[84:87], 0 offset:184 ; 4-byte Folded Reload
	v_cmp_neq_f32_e32 vcc, 1.0, v24
	v_xor_b32_e32 v28, v20, v28
	v_cndmask_b32_e64 v28, v60, v28, s[34:35]
	s_waitcnt vmcnt(1)
	v_mul_f32_e32 v28, v28, v29
	buffer_store_dword v28, off, s[84:87], 0 offset:100 ; 4-byte Folded Spill
	s_waitcnt vmcnt(1)
	v_mul_f32_e32 v4, v4, v15
	buffer_store_dword v4, off, s[84:87], 0 offset:104 ; 4-byte Folded Spill
	v_or_b32_e32 v4, v18, v37
	v_xor_b32_e32 v4, v4, v50
	v_xor_b32_e32 v4, v4, v10
	v_cndmask_b32_e64 v10, v60, v4, s[10:11]
	v_cndmask_b32_e32 v15, 1.0, v10, vcc
	v_cmp_neq_f32_e32 vcc, 0, v15
	v_cndmask_b32_e32 v18, 1.0, v24, vcc
	v_frexp_mant_f32_e64 v4, |v18|
	v_cmp_gt_f32_e32 vcc, s6, v4
	v_cndmask_b32_e64 v19, 1.0, 2.0, vcc
	v_mul_f32_e32 v4, v4, v19
	v_add_f32_e32 v20, 1.0, v4
	v_add_f32_e32 v21, -1.0, v20
	v_add_f32_e32 v19, -1.0, v4
	v_sub_f32_e32 v4, v4, v21
	v_rcp_f32_e32 v21, v20
	v_cmp_neq_f32_e64 s[2:3], v15, |v15|
	v_cmp_lt_f32_e64 s[4:5], |v18|, 1.0
	s_xor_b64 s[2:3], s[2:3], s[4:5]
	v_mul_f32_e32 v28, v19, v21
	v_mul_f32_e32 v29, v20, v28
	v_fma_f32 v20, v28, v20, -v29
	v_fmac_f32_e32 v20, v28, v4
	v_add_f32_e32 v4, v29, v20
	v_sub_f32_e32 v30, v19, v4
	v_sub_f32_e32 v29, v4, v29
	;; [unrolled: 1-line block ×5, first 2 shown]
	v_add_f32_e32 v4, v19, v4
	v_add_f32_e32 v4, v30, v4
	v_mul_f32_e32 v4, v21, v4
	v_add_f32_e32 v21, v28, v4
	v_sub_f32_e32 v19, v21, v28
	v_sub_f32_e32 v28, v4, v19
	v_mul_f32_e32 v19, v21, v21
	v_fma_f32 v20, v21, v21, -v19
	v_add_f32_e32 v4, v28, v28
	v_fmac_f32_e32 v20, v21, v4
	v_add_f32_e32 v29, v19, v20
	v_sub_f32_e32 v19, v29, v19
	v_sub_f32_e32 v19, v20, v19
	v_mul_f32_e32 v20, v21, v29
	v_fma_f32 v35, v29, v21, -v20
	v_fmac_f32_e32 v35, v29, v28
	v_mov_b32_e32 v30, 0x3e91f4c4
	v_fmac_f32_e32 v35, v19, v21
	v_fmac_f32_e32 v30, 0x3e76c4e1, v29
	v_mov_b32_e32 v4, 0x3ecccdef
	v_add_f32_e32 v47, v20, v35
	v_fma_f32 v30, v29, v30, v4
	v_sub_f32_e32 v20, v47, v20
	v_sub_f32_e32 v20, v35, v20
	v_mul_f32_e32 v35, v29, v30
	v_fma_f32 v29, v29, v30, -v35
	v_fmac_f32_e32 v29, v19, v30
	v_add_f32_e32 v19, v35, v29
	v_add_f32_e32 v30, 0x3f2aaaaa, v19
	v_sub_f32_e32 v35, v19, v35
	v_sub_f32_e32 v29, v29, v35
	v_add_f32_e32 v35, 0xbf2aaaaa, v30
	v_add_f32_e32 v29, 0x31739010, v29
	v_sub_f32_e32 v19, v19, v35
	v_add_f32_e32 v19, v29, v19
	v_add_f32_e32 v29, v30, v19
	v_sub_f32_e32 v30, v30, v29
	v_add_f32_e32 v19, v19, v30
	v_mul_f32_e32 v30, v47, v29
	v_fma_f32 v35, v47, v29, -v30
	v_fmac_f32_e32 v35, v47, v19
	v_fmac_f32_e32 v35, v20, v29
	v_cvt_f64_f32_e64 v[19:20], |v18|
	v_ldexp_f32 v21, v21, 1
	v_cmp_gt_f32_e64 s[4:5], 0, v15
	v_mov_b32_e32 v37, 0x3e91f4c4
	v_frexp_exp_i32_f64_e32 v19, v[19:20]
	v_subbrev_co_u32_e32 v19, vcc, 0, v19, vcc
	v_cvt_f32_i32_e32 v19, v19
	v_mul_f32_e32 v20, 0x3f317218, v19
	v_fma_f32 v29, v19, s77, -v20
	v_fmac_f32_e32 v29, 0xb102e308, v19
	v_ldexp_f32 v19, v28, 1
	v_add_f32_e32 v28, v20, v29
	v_sub_f32_e32 v20, v28, v20
	v_sub_f32_e32 v20, v29, v20
	v_add_f32_e32 v29, v30, v35
	v_sub_f32_e32 v30, v29, v30
	v_sub_f32_e32 v30, v35, v30
	;; [unrolled: 3-line block ×3, first 2 shown]
	v_add_f32_e32 v19, v19, v30
	v_add_f32_e32 v19, v19, v21
	;; [unrolled: 1-line block ×3, first 2 shown]
	v_sub_f32_e32 v29, v21, v35
	v_sub_f32_e32 v19, v19, v29
	v_add_f32_e32 v29, v28, v21
	v_sub_f32_e32 v30, v29, v28
	v_sub_f32_e32 v35, v29, v30
	;; [unrolled: 1-line block ×4, first 2 shown]
	v_add_f32_e32 v21, v21, v28
	v_add_f32_e32 v28, v20, v19
	v_sub_f32_e32 v30, v28, v20
	v_sub_f32_e32 v35, v28, v30
	;; [unrolled: 1-line block ×4, first 2 shown]
	v_add_f32_e32 v19, v19, v20
	v_add_f32_e32 v20, v28, v21
	;; [unrolled: 1-line block ×3, first 2 shown]
	v_sub_f32_e32 v28, v21, v29
	v_sub_f32_e32 v20, v20, v28
	v_add_f32_e32 v19, v19, v20
	v_add_f32_e32 v20, v21, v19
	v_sub_f32_e32 v21, v20, v21
	v_sub_f32_e32 v19, v19, v21
	v_mul_f32_e32 v21, v15, v20
	v_fma_f32 v20, v15, v20, -v21
	v_fmac_f32_e32 v20, v15, v19
	v_add_f32_e32 v19, v21, v20
	v_cmp_class_f32_e64 vcc, v21, s75
	v_sub_f32_e32 v28, v19, v21
	v_cndmask_b32_e32 v19, v19, v21, vcc
	v_sub_f32_e32 v20, v20, v28
	v_cmp_neq_f32_e64 vcc, |v19|, s74
	v_cndmask_b32_e32 v20, 0, v20, vcc
	v_cmp_eq_f32_e32 vcc, s79, v19
	v_mov_b32_e32 v35, 0x37000000
	v_cndmask_b32_e32 v21, 0, v35, vcc
	v_sub_f32_e32 v19, v19, v21
	v_add_f32_e32 v20, v21, v20
	v_mul_f32_e32 v21, 0x3fb8aa3b, v19
	v_fma_f32 v28, v19, s76, -v21
	v_rndne_f32_e32 v29, v21
	v_fmac_f32_e32 v28, 0x32a5705f, v19
	v_sub_f32_e32 v21, v21, v29
	v_add_f32_e32 v21, v21, v28
	v_exp_f32_e32 v21, v21
	v_cvt_i32_f32_e32 v28, v29
	v_cmp_ngt_f32_e32 vcc, s78, v19
	v_ldexp_f32 v21, v21, v28
	v_cndmask_b32_e32 v21, 0, v21, vcc
	v_cmp_nlt_f32_e32 vcc, s79, v19
	v_mov_b32_e32 v19, 0x7f800000
	v_cndmask_b32_e32 v19, v19, v21, vcc
	v_fma_f32 v20, v19, v20, v19
	v_cmp_class_f32_e64 vcc, v19, s75
	v_cndmask_b32_e32 v19, v20, v19, vcc
	v_trunc_f32_e32 v20, v15
	v_cmp_eq_f32_e32 vcc, v20, v15
	v_mul_f32_e32 v20, 0.5, v15
	v_trunc_f32_e32 v21, v20
	v_cmp_neq_f32_e64 s[0:1], v21, v20
	s_and_b64 vcc, vcc, s[0:1]
	v_cndmask_b32_e32 v20, 1.0, v18, vcc
	v_mov_b32_e32 v21, 0x7f800000
	v_bfi_b32 v19, s60, v19, v20
	v_cndmask_b32_e64 v20, v21, 0, s[2:3]
	v_cmp_neq_f32_e64 s[2:3], |v18|, 1.0
	v_cmp_class_f32_e64 s[0:1], v15, s75
	v_cndmask_b32_e64 v20, 1.0, v20, s[2:3]
	v_cndmask_b32_e64 v19, v19, v20, s[0:1]
	v_cmp_class_f32_e64 s[2:3], v18, s75
	v_cmp_eq_f32_e64 s[0:1], 0, v18
	s_or_b64 s[2:3], s[0:1], s[2:3]
	s_xor_b64 s[0:1], s[4:5], s[0:1]
	v_cndmask_b32_e64 v20, v21, 0, s[0:1]
	v_cndmask_b32_e32 v21, 0, v18, vcc
	v_bfi_b32 v20, s60, v20, v21
	v_cndmask_b32_e64 v19, v19, v20, s[2:3]
	v_cmp_o_f32_e32 vcc, v18, v15
	v_cndmask_b32_e32 v15, v60, v19, vcc
	v_mul_f32_e32 v18, v52, v15
	v_mul_f32_e32 v10, v10, v15
	buffer_store_dword v18, off, s[84:87], 0 offset:56 ; 4-byte Folded Spill
	buffer_store_dword v10, off, s[84:87], 0 offset:60 ; 4-byte Folded Spill
	buffer_load_dword v10, off, s[84:87], 0 offset:208 ; 4-byte Folded Reload
	s_nop 0
	buffer_load_dword v15, off, s[84:87], 0 offset:212 ; 4-byte Folded Reload
	buffer_load_dword v18, off, s[84:87], 0 offset:220 ; 4-byte Folded Reload
	v_mov_b32_e32 v19, 0x3c0881c4
	s_waitcnt vmcnt(2)
	v_cndmask_b32_e64 v10, v10, v27, s[44:45]
	s_waitcnt vmcnt(0)
	v_cndmask_b32_e64 v15, v15, v18, s[44:45]
	v_mul_f32_e32 v18, v10, v10
	v_fmac_f32_e32 v19, 0xb94c1982, v18
	v_fma_f32 v19, v18, v19, v25
	v_mul_f32_e32 v19, v18, v19
	v_fmac_f32_e32 v10, v10, v19
	v_mov_b32_e32 v19, 0xbab64f3b
	v_fmac_f32_e32 v19, 0x37d75334, v18
	v_fma_f32 v19, v18, v19, v51
	v_fma_f32 v19, v18, v19, v26
	v_fma_f32 v18, v18, v19, 1.0
	v_and_b32_e32 v19, 1, v15
	v_cmp_eq_u32_e32 vcc, 0, v19
	v_cndmask_b32_e64 v19, -v10, v18, vcc
	v_cndmask_b32_e32 v10, v18, v10, vcc
	v_lshlrev_b32_e32 v15, 30, v15
	v_xor_b32_e32 v10, v61, v10
	v_and_b32_e32 v15, 0x80000000, v15
	v_xor_b32_e32 v10, v10, v16
	v_xor_b32_e32 v10, v10, v15
	v_cndmask_b32_e64 v10, v60, v10, s[48:49]
	v_mul_f32_e32 v10, v42, v10
	buffer_store_dword v10, off, s[84:87], 0 offset:160 ; 4-byte Folded Spill
	buffer_load_dword v10, off, s[84:87], 0 offset:132 ; 4-byte Folded Reload
	v_xor_b32_e32 v19, v15, v19
	v_cndmask_b32_e64 v19, v60, v19, s[48:49]
	v_mul_f32_e32 v19, v42, v19
	buffer_store_dword v19, off, s[84:87], 0 offset:156 ; 4-byte Folded Spill
	v_mov_b32_e32 v18, 0xbf039337
	v_mov_b32_e32 v16, 0x3ec54587
	s_mov_b32 s48, 0x3c23d70a
	s_mov_b32 s49, 0x3e9a209a
	s_waitcnt vmcnt(1)
	v_cndmask_b32_e64 v9, v10, v9, s[16:17]
	buffer_load_dword v10, off, s[84:87], 0 offset:136 ; 4-byte Folded Reload
	buffer_load_dword v15, off, s[84:87], 0 offset:140 ; 4-byte Folded Reload
	s_waitcnt vmcnt(0)
	v_cndmask_b32_e64 v10, v10, v15, s[16:17]
	v_mul_f32_e32 v15, v9, v9
	v_fmac_f32_e32 v18, 0x3c971480, v15
	v_fma_f32 v18, v15, v18, v56
	v_rcp_f32_e32 v18, v18
	v_fmac_f32_e32 v16, 0xbc8cedd3, v15
	v_and_b32_e32 v10, 1, v10
	v_cmp_eq_u32_e32 vcc, 0, v10
	v_mul_f32_e32 v16, v16, v18
	v_mul_f32_e32 v15, v15, v16
	v_fma_f32 v16, v15, v9, v9
	v_sub_f32_e32 v18, v16, v9
	v_fma_f32 v9, v15, v9, -v18
	v_rcp_f32_e32 v15, v16
	v_fma_f32 v18, v16, -v15, 1.0
	v_fma_f32 v9, v9, -v15, v18
	v_fma_f32 v9, v9, -v15, -v15
	v_cndmask_b32_e32 v9, v9, v16, vcc
	v_xor_b32_e32 v9, v41, v9
	v_xor_b32_e32 v8, v9, v8
	v_cndmask_b32_e64 v42, v60, v8, s[22:23]
	v_and_b32_e32 v41, 0x7fffffff, v42
	v_lshrrev_b32_e32 v8, 23, v41
	v_add_u32_e32 v8, 0xffffff88, v8
	v_cmp_lt_u32_e32 vcc, 63, v8
	v_cndmask_b32_e32 v9, 0, v39, vcc
	v_add_u32_e32 v8, v9, v8
	v_cmp_lt_u32_e64 s[0:1], 31, v8
	v_cndmask_b32_e64 v9, 0, v1, s[0:1]
	v_add_u32_e32 v8, v9, v8
	v_cmp_lt_u32_e64 s[2:3], 31, v8
	v_cndmask_b32_e64 v9, 0, v1, s[2:3]
	buffer_load_dword v1, off, s[84:87], 0 offset:108 ; 4-byte Folded Reload
	v_add_u32_e32 v29, v9, v8
	v_and_b32_e32 v8, 0x7fffff, v41
	v_or_b32_e32 v27, 0x800000, v8
	v_mad_u64_u32 v[18:19], s[8:9], v27, s63, 0
	v_cmp_eq_u32_e64 s[4:5], 0, v29
	v_cmp_lt_f32_e64 s[16:17], |v42|, s33
	v_mov_b32_e32 v10, v19
	v_mad_u64_u32 v[15:16], s[8:9], v27, s64, v[10:11]
	v_cmp_class_f32_e64 s[20:21], v42, s73
	v_mov_b32_e32 v10, v16
	v_mad_u64_u32 v[19:20], s[8:9], v27, s65, v[10:11]
	v_mov_b32_e32 v10, v20
	v_mad_u64_u32 v[20:21], s[8:9], v27, s66, v[10:11]
	v_cndmask_b32_e32 v18, v19, v18, vcc
	v_mov_b32_e32 v10, v21
	v_mad_u64_u32 v[8:9], s[8:9], v27, s67, v[10:11]
	v_mov_b32_e32 v10, v9
	v_mad_u64_u32 v[9:10], s[8:9], v27, s68, v[10:11]
	v_mad_u64_u32 v[27:28], s[8:9], v27, s69, v[10:11]
	v_cndmask_b32_e32 v16, v9, v20, vcc
	v_cndmask_b32_e32 v10, v27, v8, vcc
	;; [unrolled: 1-line block ×4, first 2 shown]
	v_cndmask_b32_e64 v21, v10, v16, s[0:1]
	v_cndmask_b32_e64 v9, v9, v10, s[0:1]
	v_cndmask_b32_e64 v16, v16, v27, s[0:1]
	v_cndmask_b32_e64 v10, v9, v21, s[2:3]
	v_cndmask_b32_e64 v21, v21, v16, s[2:3]
	v_sub_u32_e32 v9, 32, v29
	v_alignbit_b32 v8, v10, v21, v9
	v_cndmask_b32_e64 v8, v8, v10, s[4:5]
	v_cndmask_b32_e32 v10, v20, v15, vcc
	v_cndmask_b32_e64 v15, v27, v10, s[0:1]
	v_cndmask_b32_e64 v16, v16, v15, s[2:3]
	v_alignbit_b32 v20, v21, v16, v9
	v_cndmask_b32_e64 v20, v20, v21, s[4:5]
	v_bfe_u32 v28, v8, 29, 1
	v_cndmask_b32_e64 v10, v10, v18, s[0:1]
	v_alignbit_b32 v21, v8, v20, 30
	v_sub_u32_e32 v29, 0, v28
	v_cndmask_b32_e64 v10, v15, v10, s[2:3]
	v_xor_b32_e32 v21, v21, v29
	v_alignbit_b32 v9, v16, v10, v9
	v_cndmask_b32_e64 v9, v9, v16, s[4:5]
	v_ffbh_u32_e32 v16, v21
	v_alignbit_b32 v15, v20, v9, 30
	v_min_u32_e32 v16, 32, v16
	v_alignbit_b32 v9, v9, v10, 30
	v_xor_b32_e32 v15, v15, v29
	v_sub_u32_e32 v18, 31, v16
	v_xor_b32_e32 v9, v9, v29
	v_alignbit_b32 v19, v21, v15, v18
	v_alignbit_b32 v9, v15, v9, v18
	;; [unrolled: 1-line block ×3, first 2 shown]
	v_ffbh_u32_e32 v15, v10
	v_min_u32_e32 v15, 32, v15
	v_lshrrev_b32_e32 v27, 29, v8
	v_not_b32_e32 v18, v15
	v_alignbit_b32 v9, v10, v9, v18
	v_lshlrev_b32_e32 v10, 31, v27
	v_or_b32_e32 v18, 0x33000000, v10
	v_add_lshl_u32 v15, v15, v16, 23
	v_lshrrev_b32_e32 v9, 9, v9
	v_sub_u32_e32 v15, v18, v15
	v_or_b32_e32 v10, 0.5, v10
	v_lshlrev_b32_e32 v16, 23, v16
	v_or_b32_e32 v9, v15, v9
	v_lshrrev_b32_e32 v15, 9, v19
	v_sub_u32_e32 v10, v10, v16
	v_lshrrev_b32_e32 v8, 30, v8
	v_or_b32_e32 v10, v15, v10
	v_add_u32_e32 v55, v28, v8
	v_mul_f32_e64 v8, |v42|, s71
	v_mul_f32_e32 v15, 0x3fc90fda, v10
	v_rndne_f32_e32 v8, v8
	v_fma_f32 v16, v10, s70, -v15
	v_fma_f32 v48, v8, s72, |v42|
	v_fmac_f32_e32 v16, 0x33a22168, v10
	v_fmac_f32_e32 v48, 0xb3a22168, v8
	;; [unrolled: 1-line block ×4, first 2 shown]
	v_cvt_i32_f32_e32 v47, v8
	s_waitcnt vmcnt(0)
	v_cndmask_b32_e64 v8, v1, v63, s[12:13]
	buffer_load_dword v1, off, s[84:87], 0 offset:112 ; 4-byte Folded Reload
	buffer_load_dword v9, off, s[84:87], 0 offset:116 ; 4-byte Folded Reload
	v_mul_f32_e32 v10, v8, v8
	v_fmac_f32_e32 v49, 0x3c971480, v10
	v_add_f32_e32 v15, v15, v16
	v_fma_f32 v16, v10, v49, v56
	v_rcp_f32_e32 v16, v16
	v_fmac_f32_e32 v43, 0xbc8cedd3, v10
	v_not_b32_e32 v63, 31
	v_mul_f32_e32 v16, v43, v16
	v_mul_f32_e32 v10, v10, v16
	v_fma_f32 v16, v10, v8, v8
	v_sub_f32_e32 v18, v16, v8
	v_fma_f32 v8, v10, v8, -v18
	v_rcp_f32_e32 v10, v16
	v_fma_f32 v18, v16, -v10, 1.0
	v_fma_f32 v8, v8, -v10, v18
	v_fma_f32 v8, v8, -v10, -v10
	s_waitcnt vmcnt(0)
	v_cndmask_b32_e64 v9, v1, v9, s[12:13]
	buffer_load_dword v1, off, s[84:87], 0 offset:120 ; 4-byte Folded Reload
	v_and_b32_e32 v9, 1, v9
	v_cmp_eq_u32_e32 vcc, 0, v9
	v_cndmask_b32_e32 v8, v8, v16, vcc
	v_xor_b32_e32 v8, v44, v8
	v_xor_b32_e32 v8, v8, v40
	v_cndmask_b32_e64 v9, v60, v8, s[14:15]
	v_and_b32_e32 v8, 0x7fffffff, v9
	v_lshrrev_b32_e32 v10, 23, v8
	v_add_u32_e32 v10, 0xffffff88, v10
	v_cmp_lt_u32_e32 vcc, 63, v10
	v_cndmask_b32_e32 v16, 0, v39, vcc
	v_add_u32_e32 v10, v16, v10
	v_cmp_lt_u32_e64 s[0:1], 31, v10
	v_cndmask_b32_e64 v16, 0, v63, s[0:1]
	v_add_u32_e32 v10, v16, v10
	v_cmp_lt_u32_e64 s[2:3], 31, v10
	v_cndmask_b32_e64 v16, 0, v63, s[2:3]
	v_add_u32_e32 v16, v16, v10
	v_and_b32_e32 v10, 0x7fffff, v8
	v_or_b32_e32 v40, 0x800000, v10
	v_mad_u64_u32 v[18:19], s[8:9], v40, s63, 0
	v_cmp_eq_u32_e64 s[4:5], 0, v16
	v_sub_u32_e32 v16, 32, v16
	v_mov_b32_e32 v10, v19
	v_mad_u64_u32 v[27:28], s[8:9], v40, s64, v[10:11]
	v_cmp_lt_f32_e64 s[22:23], |v9|, s33
	v_cmp_class_f32_e64 s[34:35], v9, s73
	v_mov_b32_e32 v10, v28
	v_mad_u64_u32 v[19:20], s[8:9], v40, s65, v[10:11]
	v_mov_b32_e32 v10, v20
	v_mad_u64_u32 v[20:21], s[8:9], v40, s66, v[10:11]
	v_cndmask_b32_e32 v18, v19, v18, vcc
	v_mov_b32_e32 v10, v21
	v_mad_u64_u32 v[28:29], s[8:9], v40, s67, v[10:11]
	v_mov_b32_e32 v10, v29
	v_mad_u64_u32 v[29:30], s[8:9], v40, s68, v[10:11]
	;; [unrolled: 2-line block ×3, first 2 shown]
	v_cndmask_b32_e32 v21, v29, v20, vcc
	v_cndmask_b32_e32 v20, v20, v27, vcc
	;; [unrolled: 1-line block ×5, first 2 shown]
	v_cndmask_b32_e64 v30, v10, v21, s[0:1]
	v_cndmask_b32_e64 v10, v29, v10, s[0:1]
	;; [unrolled: 1-line block ×6, first 2 shown]
	v_alignbit_b32 v30, v10, v29, v16
	v_cndmask_b32_e64 v21, v21, v27, s[2:3]
	v_cndmask_b32_e64 v10, v30, v10, s[4:5]
	v_alignbit_b32 v28, v29, v21, v16
	v_cndmask_b32_e64 v28, v28, v29, s[4:5]
	v_bfe_u32 v40, v10, 29, 1
	v_cndmask_b32_e64 v18, v20, v18, s[0:1]
	v_alignbit_b32 v29, v10, v28, 30
	v_sub_u32_e32 v43, 0, v40
	v_cndmask_b32_e64 v18, v27, v18, s[2:3]
	v_xor_b32_e32 v29, v29, v43
	v_alignbit_b32 v16, v21, v18, v16
	v_cndmask_b32_e64 v16, v16, v21, s[4:5]
	v_ffbh_u32_e32 v20, v29
	v_alignbit_b32 v19, v28, v16, 30
	v_min_u32_e32 v20, 32, v20
	v_alignbit_b32 v16, v16, v18, 30
	v_xor_b32_e32 v19, v19, v43
	v_sub_u32_e32 v21, 31, v20
	v_xor_b32_e32 v16, v16, v43
	v_alignbit_b32 v27, v29, v19, v21
	v_alignbit_b32 v16, v19, v16, v21
	;; [unrolled: 1-line block ×3, first 2 shown]
	v_ffbh_u32_e32 v19, v18
	v_lshrrev_b32_e32 v30, 29, v10
	v_min_u32_e32 v19, 32, v19
	v_lshrrev_b32_e32 v10, 30, v10
	v_not_b32_e32 v21, v19
	v_add_u32_e32 v61, v40, v10
	v_mul_f32_e64 v10, |v9|, s71
	v_alignbit_b32 v16, v18, v16, v21
	v_lshlrev_b32_e32 v18, 31, v30
	v_rndne_f32_e32 v10, v10
	v_or_b32_e32 v21, 0x33000000, v18
	v_add_lshl_u32 v19, v19, v20, 23
	v_fma_f32 v30, v10, s72, |v9|
	v_lshrrev_b32_e32 v16, 9, v16
	v_sub_u32_e32 v19, v21, v19
	v_fmac_f32_e32 v30, 0xb3a22168, v10
	v_or_b32_e32 v16, v19, v16
	v_lshrrev_b32_e32 v19, 9, v27
	v_fmac_f32_e32 v30, 0xa7c234c4, v10
	v_cvt_i32_f32_e32 v27, v10
	s_waitcnt vmcnt(0)
	v_cndmask_b32_e64 v10, v1, v12, s[18:19]
	buffer_load_dword v1, off, s[84:87], 0 offset:124 ; 4-byte Folded Reload
	buffer_load_dword v12, off, s[84:87], 0 offset:128 ; 4-byte Folded Reload
	v_or_b32_e32 v18, 0.5, v18
	v_lshlrev_b32_e32 v20, 23, v20
	v_sub_u32_e32 v18, v18, v20
	v_or_b32_e32 v18, v19, v18
	v_mul_f32_e32 v19, 0x3fc90fda, v18
	v_fma_f32 v20, v18, s70, -v19
	v_fmac_f32_e32 v20, 0x33a22168, v18
	v_fmac_f32_e32 v20, 0x3fc90fda, v16
	v_mul_f32_e32 v16, v10, v10
	v_mov_b32_e32 v18, 0x3c0881c4
	v_fmac_f32_e32 v18, 0xb94c1982, v16
	v_fma_f32 v18, v16, v18, v25
	v_mul_f32_e32 v18, v16, v18
	v_fmac_f32_e32 v10, v10, v18
	v_mov_b32_e32 v18, 0xbab64f3b
	v_fmac_f32_e32 v18, 0x37d75334, v16
	v_fma_f32 v18, v16, v18, v51
	v_fma_f32 v18, v16, v18, v26
	v_fma_f32 v16, v16, v18, 1.0
	v_add_f32_e32 v44, v19, v20
	v_mov_b32_e32 v20, 0x40400000
	s_waitcnt vmcnt(0)
	v_cndmask_b32_e64 v12, v1, v12, s[18:19]
	v_and_b32_e32 v18, 1, v12
	v_lshlrev_b32_e32 v12, 30, v12
	v_cmp_eq_u32_e32 vcc, 0, v18
	v_and_b32_e32 v12, 0x80000000, v12
	v_cndmask_b32_e32 v10, v16, v10, vcc
	v_xor_b32_e32 v12, v12, v57
	v_xor_b32_e32 v10, v12, v10
	;; [unrolled: 1-line block ×3, first 2 shown]
	v_cndmask_b32_e64 v10, v60, v10, s[24:25]
	v_cmp_eq_f32_e32 vcc, 1.0, v10
	v_frexp_mant_f32_e64 v16, |v10|
	v_cndmask_b32_e64 v12, v20, 1.0, vcc
	v_cmp_gt_f32_e32 vcc, s6, v16
	v_cndmask_b32_e64 v17, 1.0, 2.0, vcc
	v_mul_f32_e32 v16, v16, v17
	v_add_f32_e32 v18, 1.0, v16
	v_add_f32_e32 v19, -1.0, v18
	v_add_f32_e32 v17, -1.0, v16
	v_sub_f32_e32 v16, v16, v19
	v_rcp_f32_e32 v19, v18
	buffer_load_dword v1, off, s[84:87], 0 offset:144 ; 4-byte Folded Reload
	v_cmp_gt_f32_e64 s[2:3], 0, v10
	v_mul_f32_e32 v21, v17, v19
	v_mul_f32_e32 v28, v18, v21
	v_fma_f32 v18, v21, v18, -v28
	v_fmac_f32_e32 v18, v21, v16
	v_add_f32_e32 v16, v28, v18
	v_sub_f32_e32 v29, v17, v16
	v_sub_f32_e32 v28, v16, v28
	;; [unrolled: 1-line block ×5, first 2 shown]
	v_add_f32_e32 v16, v17, v16
	v_add_f32_e32 v16, v29, v16
	v_mul_f32_e32 v16, v19, v16
	v_add_f32_e32 v18, v21, v16
	v_sub_f32_e32 v17, v18, v21
	v_sub_f32_e32 v19, v16, v17
	v_mul_f32_e32 v16, v18, v18
	v_fma_f32 v17, v18, v18, -v16
	v_add_f32_e32 v21, v19, v19
	v_fmac_f32_e32 v17, v18, v21
	v_add_f32_e32 v21, v16, v17
	v_sub_f32_e32 v16, v21, v16
	v_sub_f32_e32 v16, v17, v16
	v_mul_f32_e32 v17, v18, v21
	v_fma_f32 v29, v21, v18, -v17
	v_fmac_f32_e32 v29, v21, v19
	v_mov_b32_e32 v28, 0x3e91f4c4
	v_fmac_f32_e32 v29, v16, v18
	v_fmac_f32_e32 v28, 0x3e76c4e1, v21
	v_add_f32_e32 v40, v17, v29
	v_fma_f32 v28, v21, v28, v4
	v_sub_f32_e32 v17, v40, v17
	v_sub_f32_e32 v17, v29, v17
	v_mul_f32_e32 v29, v21, v28
	v_fma_f32 v21, v21, v28, -v29
	v_fmac_f32_e32 v21, v16, v28
	v_add_f32_e32 v16, v29, v21
	v_add_f32_e32 v28, 0x3f2aaaaa, v16
	v_sub_f32_e32 v29, v16, v29
	v_sub_f32_e32 v21, v21, v29
	v_add_f32_e32 v29, 0xbf2aaaaa, v28
	v_add_f32_e32 v21, 0x31739010, v21
	v_sub_f32_e32 v16, v16, v29
	v_add_f32_e32 v16, v21, v16
	v_add_f32_e32 v21, v28, v16
	v_sub_f32_e32 v28, v28, v21
	v_add_f32_e32 v16, v16, v28
	v_mul_f32_e32 v28, v40, v21
	v_fma_f32 v29, v40, v21, -v28
	v_fmac_f32_e32 v29, v40, v16
	v_fmac_f32_e32 v29, v17, v21
	v_cvt_f64_f32_e64 v[16:17], |v10|
	v_ldexp_f32 v18, v18, 1
	v_frexp_exp_i32_f64_e32 v16, v[16:17]
	v_subbrev_co_u32_e32 v16, vcc, 0, v16, vcc
	v_cvt_f32_i32_e32 v16, v16
	v_mul_f32_e32 v17, 0x3f317218, v16
	v_fma_f32 v21, v16, s77, -v17
	v_fmac_f32_e32 v21, 0xb102e308, v16
	v_ldexp_f32 v16, v19, 1
	v_add_f32_e32 v19, v17, v21
	v_sub_f32_e32 v17, v19, v17
	v_sub_f32_e32 v17, v21, v17
	v_add_f32_e32 v21, v28, v29
	v_sub_f32_e32 v28, v21, v28
	v_sub_f32_e32 v28, v29, v28
	;; [unrolled: 3-line block ×3, first 2 shown]
	v_add_f32_e32 v16, v16, v28
	v_add_f32_e32 v16, v16, v18
	;; [unrolled: 1-line block ×3, first 2 shown]
	v_sub_f32_e32 v21, v18, v29
	v_sub_f32_e32 v16, v16, v21
	v_add_f32_e32 v21, v19, v18
	v_sub_f32_e32 v28, v21, v19
	v_sub_f32_e32 v29, v21, v28
	;; [unrolled: 1-line block ×4, first 2 shown]
	v_add_f32_e32 v18, v18, v19
	v_add_f32_e32 v19, v17, v16
	v_sub_f32_e32 v28, v19, v17
	v_sub_f32_e32 v29, v19, v28
	v_sub_f32_e32 v17, v17, v29
	v_sub_f32_e32 v16, v16, v28
	v_add_f32_e32 v16, v16, v17
	v_add_f32_e32 v17, v19, v18
	;; [unrolled: 1-line block ×3, first 2 shown]
	v_sub_f32_e32 v19, v18, v21
	v_sub_f32_e32 v17, v17, v19
	v_add_f32_e32 v16, v16, v17
	v_add_f32_e32 v17, v18, v16
	v_sub_f32_e32 v18, v17, v18
	v_sub_f32_e32 v16, v16, v18
	v_mul_f32_e32 v18, v12, v17
	v_fma_f32 v17, v12, v17, -v18
	v_fmac_f32_e32 v17, v12, v16
	v_add_f32_e32 v16, v18, v17
	v_cmp_class_f32_e64 vcc, v18, s75
	v_sub_f32_e32 v19, v16, v18
	v_cndmask_b32_e32 v16, v16, v18, vcc
	v_sub_f32_e32 v17, v17, v19
	v_cmp_neq_f32_e64 vcc, |v16|, s74
	v_cndmask_b32_e32 v17, 0, v17, vcc
	v_cmp_eq_f32_e32 vcc, s79, v16
	v_cndmask_b32_e32 v18, 0, v35, vcc
	v_sub_f32_e32 v16, v16, v18
	v_add_f32_e32 v17, v18, v17
	v_mul_f32_e32 v18, 0x3fb8aa3b, v16
	v_fma_f32 v19, v16, s76, -v18
	v_rndne_f32_e32 v21, v18
	v_fmac_f32_e32 v19, 0x32a5705f, v16
	v_sub_f32_e32 v18, v18, v21
	v_add_f32_e32 v18, v18, v19
	v_exp_f32_e32 v18, v18
	v_cvt_i32_f32_e32 v19, v21
	v_cmp_ngt_f32_e32 vcc, s78, v16
	v_ldexp_f32 v18, v18, v19
	v_cndmask_b32_e32 v18, 0, v18, vcc
	v_cmp_nlt_f32_e32 vcc, s79, v16
	v_cndmask_b32_e32 v16, v31, v18, vcc
	v_fma_f32 v17, v16, v17, v16
	v_cmp_class_f32_e64 vcc, v16, s75
	v_cndmask_b32_e32 v16, v17, v16, vcc
	v_trunc_f32_e32 v17, v12
	v_cmp_eq_f32_e32 vcc, v17, v12
	v_mul_f32_e32 v12, 0.5, v12
	v_trunc_f32_e32 v17, v12
	v_cmp_neq_f32_e64 s[0:1], v17, v12
	s_and_b64 s[0:1], vcc, s[0:1]
	v_cndmask_b32_e64 v12, 1.0, v10, s[0:1]
	v_bfi_b32 v12, s60, v16, v12
	v_cndmask_b32_e32 v16, v60, v12, vcc
	v_cmp_eq_f32_e32 vcc, 0, v10
	v_cndmask_b32_e64 v12, v12, v16, s[2:3]
	v_cmp_class_f32_e64 s[2:3], v10, s75
	v_cndmask_b32_e64 v16, v31, 0, vcc
	v_cndmask_b32_e64 v17, 0, v10, s[0:1]
	s_or_b64 s[2:3], vcc, s[2:3]
	v_bfi_b32 v16, s60, v16, v17
	v_cndmask_b32_e64 v12, v12, v16, s[2:3]
	v_cmp_o_f32_e32 vcc, v10, v10
	v_cndmask_b32_e32 v19, v60, v12, vcc
	s_waitcnt vmcnt(0)
	v_cndmask_b32_e64 v12, v1, v36, s[26:27]
	buffer_load_dword v1, off, s[84:87], 0 offset:148 ; 4-byte Folded Reload
	buffer_load_dword v16, off, s[84:87], 0 offset:152 ; 4-byte Folded Reload
	v_mov_b32_e32 v18, 0x3c0881c4
	s_waitcnt vmcnt(0)
	v_cndmask_b32_e64 v17, v1, v16, s[26:27]
	v_mul_f32_e32 v16, v12, v12
	v_fmac_f32_e32 v18, 0xb94c1982, v16
	v_fma_f32 v18, v16, v18, v25
	v_mul_f32_e32 v18, v16, v18
	v_fmac_f32_e32 v12, v12, v18
	v_mov_b32_e32 v18, 0xbab64f3b
	v_fmac_f32_e32 v18, 0x37d75334, v16
	v_fma_f32 v18, v16, v18, v51
	v_fma_f32 v18, v16, v18, v26
	v_fma_f32 v16, v16, v18, 1.0
	v_and_b32_e32 v18, 1, v17
	v_cmp_eq_u32_e64 s[0:1], 0, v18
	v_cndmask_b32_e64 v21, v16, v12, s[0:1]
	v_lshlrev_b32_e32 v17, 30, v17
	v_xor_b32_e32 v5, v5, v21
	v_and_b32_e32 v18, 0x80000000, v17
	v_xor_b32_e32 v5, v5, v6
	v_xor_b32_e32 v5, v5, v18
	v_cndmask_b32_e64 v5, v60, v5, s[28:29]
	v_cmp_eq_f32_e32 vcc, 1.0, v5
	v_frexp_mant_f32_e64 v17, |v5|
	v_cndmask_b32_e64 v6, v20, 1.0, vcc
	v_cmp_gt_f32_e32 vcc, s6, v17
	v_cndmask_b32_e64 v20, 1.0, 2.0, vcc
	v_mul_f32_e32 v17, v17, v20
	v_add_f32_e32 v21, 1.0, v17
	v_add_f32_e32 v28, -1.0, v21
	v_add_f32_e32 v20, -1.0, v17
	v_sub_f32_e32 v17, v17, v28
	v_rcp_f32_e32 v28, v21
	v_cmp_gt_f32_e64 s[4:5], 0, v5
	v_mul_f32_e32 v29, v20, v28
	v_mul_f32_e32 v36, v21, v29
	v_fma_f32 v21, v29, v21, -v36
	v_fmac_f32_e32 v21, v29, v17
	v_add_f32_e32 v17, v36, v21
	v_sub_f32_e32 v40, v20, v17
	v_sub_f32_e32 v36, v17, v36
	;; [unrolled: 1-line block ×5, first 2 shown]
	v_add_f32_e32 v17, v20, v17
	v_add_f32_e32 v17, v40, v17
	v_mul_f32_e32 v17, v28, v17
	v_add_f32_e32 v28, v29, v17
	v_sub_f32_e32 v20, v28, v29
	v_sub_f32_e32 v17, v17, v20
	v_mul_f32_e32 v20, v28, v28
	v_fma_f32 v21, v28, v28, -v20
	v_add_f32_e32 v29, v17, v17
	v_fmac_f32_e32 v21, v28, v29
	v_add_f32_e32 v29, v20, v21
	v_sub_f32_e32 v20, v29, v20
	v_sub_f32_e32 v20, v21, v20
	v_mul_f32_e32 v21, v28, v29
	v_fma_f32 v36, v29, v28, -v21
	v_fmac_f32_e32 v36, v29, v17
	v_fmac_f32_e32 v37, 0x3e76c4e1, v29
	;; [unrolled: 1-line block ×4, first 2 shown]
	v_add_f32_e32 v37, v21, v36
	v_sub_f32_e32 v21, v37, v21
	v_sub_f32_e32 v21, v36, v21
	v_mul_f32_e32 v36, v29, v4
	v_fma_f32 v29, v29, v4, -v36
	v_fmac_f32_e32 v29, v20, v4
	v_add_f32_e32 v4, v36, v29
	v_add_f32_e32 v20, 0x3f2aaaaa, v4
	v_sub_f32_e32 v36, v4, v36
	v_sub_f32_e32 v29, v29, v36
	v_add_f32_e32 v36, 0xbf2aaaaa, v20
	v_add_f32_e32 v29, 0x31739010, v29
	v_sub_f32_e32 v4, v4, v36
	v_add_f32_e32 v4, v29, v4
	v_add_f32_e32 v29, v20, v4
	v_sub_f32_e32 v20, v20, v29
	v_mul_f32_e32 v36, v37, v29
	v_add_f32_e32 v4, v4, v20
	v_fma_f32 v40, v37, v29, -v36
	v_fmac_f32_e32 v40, v37, v4
	v_fmac_f32_e32 v40, v21, v29
	v_cvt_f64_f32_e64 v[20:21], |v5|
	v_mov_b32_e32 v37, v52
	v_frexp_exp_i32_f64_e32 v4, v[20:21]
	v_subbrev_co_u32_e32 v4, vcc, 0, v4, vcc
	v_cvt_f32_i32_e32 v4, v4
	v_mul_f32_e32 v20, 0x3f317218, v4
	v_fma_f32 v21, v4, s77, -v20
	v_fmac_f32_e32 v21, 0xb102e308, v4
	v_ldexp_f32 v4, v17, 1
	v_ldexp_f32 v17, v28, 1
	v_add_f32_e32 v28, v20, v21
	v_sub_f32_e32 v20, v28, v20
	v_sub_f32_e32 v20, v21, v20
	v_add_f32_e32 v21, v36, v40
	v_sub_f32_e32 v29, v21, v36
	v_add_f32_e32 v36, v17, v21
	v_sub_f32_e32 v29, v40, v29
	v_sub_f32_e32 v17, v36, v17
	;; [unrolled: 1-line block ×3, first 2 shown]
	v_add_f32_e32 v4, v4, v29
	v_add_f32_e32 v4, v4, v17
	;; [unrolled: 1-line block ×3, first 2 shown]
	v_sub_f32_e32 v21, v17, v36
	v_sub_f32_e32 v4, v4, v21
	v_add_f32_e32 v21, v28, v17
	v_sub_f32_e32 v29, v21, v28
	v_sub_f32_e32 v36, v21, v29
	;; [unrolled: 1-line block ×4, first 2 shown]
	v_add_f32_e32 v17, v17, v28
	v_add_f32_e32 v28, v20, v4
	v_sub_f32_e32 v29, v28, v20
	v_sub_f32_e32 v36, v28, v29
	v_sub_f32_e32 v20, v20, v36
	v_sub_f32_e32 v4, v4, v29
	v_add_f32_e32 v17, v28, v17
	v_add_f32_e32 v4, v4, v20
	;; [unrolled: 1-line block ×3, first 2 shown]
	v_sub_f32_e32 v21, v20, v21
	v_sub_f32_e32 v17, v17, v21
	v_add_f32_e32 v4, v4, v17
	v_add_f32_e32 v17, v20, v4
	v_sub_f32_e32 v20, v17, v20
	v_sub_f32_e32 v4, v4, v20
	v_mul_f32_e32 v20, v6, v17
	v_fma_f32 v17, v6, v17, -v20
	v_fmac_f32_e32 v17, v6, v4
	v_add_f32_e32 v4, v20, v17
	v_cmp_class_f32_e64 vcc, v20, s75
	v_sub_f32_e32 v21, v4, v20
	v_cndmask_b32_e32 v4, v4, v20, vcc
	v_sub_f32_e32 v17, v17, v21
	v_cmp_neq_f32_e64 vcc, |v4|, s74
	v_cndmask_b32_e32 v17, 0, v17, vcc
	v_cmp_eq_f32_e32 vcc, s79, v4
	v_cndmask_b32_e32 v20, 0, v35, vcc
	v_sub_f32_e32 v4, v4, v20
	v_add_f32_e32 v17, v20, v17
	v_mul_f32_e32 v20, 0x3fb8aa3b, v4
	v_fma_f32 v21, v4, s76, -v20
	v_rndne_f32_e32 v28, v20
	v_fmac_f32_e32 v21, 0x32a5705f, v4
	v_sub_f32_e32 v20, v20, v28
	v_add_f32_e32 v20, v20, v21
	v_exp_f32_e32 v20, v20
	v_cvt_i32_f32_e32 v21, v28
	v_cmp_ngt_f32_e32 vcc, s78, v4
	v_ldexp_f32 v20, v20, v21
	v_cndmask_b32_e32 v20, 0, v20, vcc
	v_cmp_nlt_f32_e32 vcc, s79, v4
	v_cndmask_b32_e32 v4, v31, v20, vcc
	v_fma_f32 v17, v4, v17, v4
	v_cmp_class_f32_e64 vcc, v4, s75
	v_cndmask_b32_e32 v4, v17, v4, vcc
	v_trunc_f32_e32 v17, v6
	v_cmp_eq_f32_e32 vcc, v17, v6
	v_mul_f32_e32 v6, 0.5, v6
	v_trunc_f32_e32 v17, v6
	v_cmp_neq_f32_e64 s[2:3], v17, v6
	s_and_b64 s[2:3], vcc, s[2:3]
	v_cndmask_b32_e64 v6, 1.0, v5, s[2:3]
	v_bfi_b32 v4, s60, v4, v6
	v_cndmask_b32_e32 v6, v60, v4, vcc
	v_cmp_eq_f32_e32 vcc, 0, v5
	v_cndmask_b32_e64 v4, v4, v6, s[4:5]
	v_cmp_class_f32_e64 s[4:5], v5, s75
	v_cndmask_b32_e64 v6, v31, 0, vcc
	v_cndmask_b32_e64 v17, 0, v5, s[2:3]
	s_or_b64 s[4:5], vcc, s[4:5]
	v_bfi_b32 v6, s60, v6, v17
	v_cndmask_b32_e64 v4, v4, v6, s[4:5]
	v_cmp_o_f32_e32 vcc, v5, v5
	v_cndmask_b32_e32 v4, v60, v4, vcc
	v_add_f32_e32 v5, v19, v4
	v_mul_f32_e32 v1, v24, v5
	v_sub_f32_e32 v4, v19, v4
	buffer_store_dword v1, off, s[84:87], 0 offset:64 ; 4-byte Folded Spill
	v_mul_f32_e32 v1, v24, v4
	buffer_store_dword v1, off, s[84:87], 0 offset:68 ; 4-byte Folded Spill
	buffer_load_dword v1, off, s[84:87], 0 offset:168 ; 4-byte Folded Reload
	v_mov_b32_e32 v17, 0x3c0881c4
	v_mov_b32_e32 v21, v2
	s_waitcnt vmcnt(0)
	v_cndmask_b32_e64 v4, v1, v46, s[30:31]
	buffer_load_dword v1, off, s[84:87], 0 offset:172 ; 4-byte Folded Reload
	buffer_load_dword v5, off, s[84:87], 0 offset:176 ; 4-byte Folded Reload
	v_mul_f32_e32 v6, v4, v4
	v_fmac_f32_e32 v17, 0xb94c1982, v6
	v_fma_f32 v17, v6, v17, v25
	v_mul_f32_e32 v17, v6, v17
	v_fmac_f32_e32 v4, v4, v17
	v_mov_b32_e32 v17, 0xbab64f3b
	v_fmac_f32_e32 v17, 0x37d75334, v6
	v_fma_f32 v17, v6, v17, v51
	v_fma_f32 v17, v6, v17, v26
	v_fma_f32 v6, v6, v17, 1.0
	s_waitcnt vmcnt(0)
	v_cndmask_b32_e64 v5, v1, v5, s[30:31]
	v_and_b32_e32 v17, 1, v5
	v_cmp_eq_u32_e32 vcc, 0, v17
	v_lshlrev_b32_e32 v5, 30, v5
	v_cndmask_b32_e64 v17, -v4, v6, vcc
	v_and_b32_e32 v5, 0x80000000, v5
	v_xor_b32_e32 v17, v5, v17
	v_cndmask_b32_e64 v17, v60, v17, s[36:37]
	v_mul_f32_e32 v1, v17, v53
	v_cndmask_b32_e32 v4, v6, v4, vcc
	buffer_store_dword v1, off, s[84:87], 0 offset:108 ; 4-byte Folded Spill
	v_xor_b32_e32 v4, v24, v4
	v_and_b32_e32 v1, 0x7fffffff, v24
	v_xor_b32_e32 v4, v4, v1
	v_xor_b32_e32 v4, v4, v5
	v_cndmask_b32_e64 v4, v60, v4, s[36:37]
	v_mul_f32_e32 v1, v4, v52
	v_add_f32_e32 v4, v4, v52
	buffer_store_dword v1, off, s[84:87], 0 offset:112 ; 4-byte Folded Spill
	v_mul_f32_e32 v1, v24, v4
	v_sub_f32_e32 v4, v53, v17
	buffer_store_dword v1, off, s[84:87], 0 offset:116 ; 4-byte Folded Spill
	buffer_store_dword v53, off, s[84:87], 0 offset:96 ; 4-byte Folded Spill
	v_mul_f32_e32 v1, v24, v4
	buffer_store_dword v1, off, s[84:87], 0 offset:120 ; 4-byte Folded Spill
	buffer_load_dword v1, off, s[84:87], 0 offset:188 ; 4-byte Folded Reload
	v_div_scale_f32 v5, s[2:3], v24, v24, v53
	v_rcp_f32_e32 v6, v5
	v_fma_f32 v19, -v5, v6, 1.0
	v_fmac_f32_e32 v6, v19, v6
	v_div_scale_f32 v19, vcc, v53, v24, v53
	v_mul_f32_e32 v20, v19, v6
	v_fma_f32 v28, -v5, v20, v19
	v_fmac_f32_e32 v20, v28, v6
	v_fma_f32 v5, -v5, v20, v19
	v_div_fmas_f32 v5, v5, v6, v20
	v_mov_b32_e32 v19, 0x3c0881c4
	v_div_fixup_f32 v6, v5, v24, v53
	s_waitcnt vmcnt(0)
	v_cndmask_b32_e64 v4, v1, v58, s[38:39]
	buffer_load_dword v1, off, s[84:87], 0 offset:192 ; 4-byte Folded Reload
	buffer_load_dword v5, off, s[84:87], 0 offset:196 ; 4-byte Folded Reload
	v_mul_f32_e32 v17, v4, v4
	v_fmac_f32_e32 v19, 0xb94c1982, v17
	v_fma_f32 v19, v17, v19, v25
	v_mul_f32_e32 v19, v17, v19
	v_fmac_f32_e32 v4, v4, v19
	v_mov_b32_e32 v19, 0xbab64f3b
	v_fmac_f32_e32 v19, 0x37d75334, v17
	v_fma_f32 v19, v17, v19, v51
	v_fma_f32 v19, v17, v19, v26
	v_fma_f32 v17, v17, v19, 1.0
	s_waitcnt vmcnt(0)
	v_cndmask_b32_e64 v5, v1, v5, s[38:39]
	v_and_b32_e32 v19, 1, v5
	v_cmp_eq_u32_e32 vcc, 0, v19
	v_cndmask_b32_e32 v19, v17, v4, vcc
	v_lshlrev_b32_e32 v5, 30, v5
	v_xor_b32_e32 v19, v62, v19
	v_and_b32_e32 v5, 0x80000000, v5
	v_xor_b32_e32 v19, v19, v59
	v_xor_b32_e32 v19, v19, v5
	v_cndmask_b32_e64 v4, -v4, v17, vcc
	v_cndmask_b32_e64 v19, v60, v19, s[40:41]
	v_xor_b32_e32 v4, v5, v4
	v_mul_f32_e32 v1, v2, v19
	v_cndmask_b32_e64 v4, v60, v4, s[40:41]
	buffer_store_dword v1, off, s[84:87], 0 offset:124 ; 4-byte Folded Spill
	v_mul_f32_e32 v1, v2, v4
	buffer_store_dword v1, off, s[84:87], 0 offset:128 ; 4-byte Folded Spill
	buffer_load_dword v1, off, s[84:87], 0 offset:200 ; 4-byte Folded Reload
	v_mov_b32_e32 v17, 0x3c0881c4
	s_waitcnt vmcnt(0)
	v_cndmask_b32_e64 v0, v1, v0, s[42:43]
	buffer_load_dword v1, off, s[84:87], 0 offset:204 ; 4-byte Folded Reload
	buffer_load_dword v2, off, s[84:87], 0 offset:216 ; 4-byte Folded Reload
	v_mul_f32_e32 v5, v0, v0
	v_fmac_f32_e32 v17, 0xb94c1982, v5
	v_fma_f32 v17, v5, v17, v25
	v_mul_f32_e32 v17, v5, v17
	v_fmac_f32_e32 v0, v0, v17
	v_mov_b32_e32 v17, 0xbab64f3b
	v_fmac_f32_e32 v17, 0x37d75334, v5
	v_fma_f32 v17, v5, v17, v51
	v_fma_f32 v17, v5, v17, v26
	v_fma_f32 v5, v5, v17, 1.0
	s_waitcnt vmcnt(0)
	v_cndmask_b32_e64 v4, v1, v2, s[42:43]
	v_and_b32_e32 v17, 1, v4
	v_cmp_eq_u32_e32 vcc, 0, v17
	v_lshlrev_b32_e32 v4, 30, v4
	v_cndmask_b32_e32 v17, v5, v0, vcc
	v_and_b32_e32 v4, 0x80000000, v4
	v_cndmask_b32_e64 v0, -v0, v5, vcc
	v_xor_b32_e32 v0, v4, v0
	v_cndmask_b32_e64 v0, v60, v0, s[46:47]
	v_mul_f32_e64 v0, v0, -v24
	buffer_store_dword v0, off, s[84:87], 0 offset:152 ; 4-byte Folded Spill
	v_mul_f32_e32 v0, v24, v10
	buffer_store_dword v0, off, s[84:87], 0 offset:132 ; 4-byte Folded Spill
	v_cndmask_b32_e64 v0, -v12, v16, s[0:1]
	v_xor_b32_e32 v0, v18, v0
	v_cndmask_b32_e64 v0, v60, v0, s[28:29]
	v_xor_b32_e32 v17, v38, v17
	v_mul_f32_e32 v0, v24, v0
	v_xor_b32_e32 v17, v17, v33
	buffer_store_dword v0, off, s[84:87], 0 offset:136 ; 4-byte Folded Spill
	v_cndmask_b32_e64 v0, v14, v32, s[50:51]
	v_xor_b32_e32 v17, v17, v4
	v_cndmask_b32_e64 v4, v13, v7, s[50:51]
	v_mul_f32_e32 v5, v0, v0
	v_mov_b32_e32 v7, 0x3c0881c4
	v_fmac_f32_e32 v7, 0xb94c1982, v5
	v_fma_f32 v7, v5, v7, v25
	v_mul_f32_e32 v7, v5, v7
	v_fmac_f32_e32 v0, v0, v7
	v_mov_b32_e32 v7, 0xbab64f3b
	v_fmac_f32_e32 v7, 0x37d75334, v5
	v_fma_f32 v7, v5, v7, v51
	v_fma_f32 v7, v5, v7, v26
	v_fma_f32 v5, v5, v7, 1.0
	v_and_b32_e32 v7, 1, v4
	v_lshlrev_b32_e32 v4, 30, v4
	v_and_b32_e32 v4, 0x80000000, v4
	v_cmp_eq_u32_e32 vcc, 0, v7
	v_or_b32_e32 v10, v4, v34
	v_cndmask_b32_e32 v7, v5, v0, vcc
	v_xor_b32_e32 v3, v10, v3
	v_cndmask_b32_e64 v0, -v0, v5, vcc
	v_cndmask_b32_e64 v17, v60, v17, s[46:47]
	v_xor_b32_e32 v3, v3, v7
	v_xor_b32_e32 v0, v4, v0
	v_mul_f32_e32 v1, v24, v17
	v_cndmask_b32_e64 v3, v60, v3, s[52:53]
	v_cndmask_b32_e64 v0, v60, v0, s[52:53]
	buffer_store_dword v1, off, s[84:87], 0 offset:148 ; 4-byte Folded Spill
	v_mul_f32_e32 v4, v23, v0
	v_mul_f32_e32 v28, v23, v3
	v_fma_f32 v52, v22, v3, -v4
	v_fmac_f32_e32 v28, v22, v0
	buffer_load_dword v0, off, s[84:87], 0 offset:80 ; 4-byte Folded Reload
	buffer_load_dword v1, off, s[84:87], 0 offset:84 ; 4-byte Folded Reload
	;; [unrolled: 1-line block ×6, first 2 shown]
	v_not_b32_e32 v60, 63
	s_waitcnt vmcnt(3)
	v_mul_f32_e32 v0, 0x40490fdb, v2
	s_waitcnt vmcnt(2)
	v_mul_f32_e32 v3, v2, v0
	s_waitcnt vmcnt(0)
	v_add_f32_e32 v0, v58, v50
	v_cvt_f64_f32_e64 v[12:13], |v0|
	v_cmp_eq_f32_e64 vcc, |v0|, |v3|
	v_bfi_b32 v4, s60, 0, v0
	v_cndmask_b32_e32 v4, v0, v4, vcc
	buffer_store_dword v4, off, s[84:87], 0 offset:164 ; 4-byte Folded Spill
	v_frexp_exp_i32_f64_e32 v4, v[12:13]
	v_cvt_f64_f32_e64 v[12:13], |v3|
	v_frexp_mant_f32_e64 v5, |v0|
	v_ldexp_f32 v5, v5, 12
	buffer_store_dword v5, off, s[84:87], 0 offset:192 ; 4-byte Folded Spill
	v_frexp_exp_i32_f64_e32 v5, v[12:13]
	v_fma_f32 v49, 0.5, v3, v50
	v_cmp_gt_f32_e64 s[36:37], |v0|, |v3|
	v_cmp_class_f32_e64 s[4:5], v0, s73
	v_cmp_o_f32_e32 vcc, v3, v3
	s_and_b64 s[4:5], vcc, s[4:5]
	v_fmac_f32_e32 v50, -0.5, v3
	v_cmp_eq_f32_e64 s[2:3], 0, v3
	v_add_u32_e32 v7, -1, v5
	v_sub_u32_e32 v53, v4, v5
	v_and_b32_e32 v4, 0x80000000, v0
	v_mul_f32_e32 v0, 0.5, v3
	v_and_b32_e32 v5, 0x7fffffff, v49
	buffer_store_dword v0, off, s[84:87], 0 offset:168 ; 4-byte Folded Spill
	v_lshrrev_b32_e32 v0, 23, v5
	v_add_u32_e32 v0, 0xffffff88, v0
	v_cmp_lt_u32_e32 vcc, 63, v0
	buffer_store_dword v4, off, s[84:87], 0 offset:200 ; 4-byte Folded Spill
	v_cndmask_b32_e32 v4, 0, v60, vcc
	v_add_u32_e32 v0, v4, v0
	v_cmp_lt_u32_e64 s[6:7], 31, v0
	v_cndmask_b32_e64 v4, 0, v63, s[6:7]
	v_add_u32_e32 v0, v4, v0
	v_cmp_lt_u32_e64 s[8:9], 31, v0
	v_cndmask_b32_e64 v4, 0, v63, s[8:9]
	v_add_u32_e32 v0, v4, v0
	v_and_b32_e32 v4, 0x7fffff, v5
	v_or_b32_e32 v4, 0x800000, v4
	v_mad_u64_u32 v[18:19], s[12:13], v4, s63, 0
	buffer_store_dword v7, off, s[84:87], 0 offset:196 ; 4-byte Folded Spill
	v_frexp_mant_f32_e64 v7, |v3|
	v_mov_b32_e32 v10, v19
	v_mad_u64_u32 v[12:13], s[12:13], v4, s64, v[10:11]
	v_ldexp_f32 v33, v7, 1
	v_cmp_eq_u32_e64 s[10:11], 0, v0
	v_mov_b32_e32 v10, v13
	v_mad_u64_u32 v[19:20], s[12:13], v4, s65, v[10:11]
	v_sub_u32_e32 v0, 32, v0
	v_cmp_lt_f32_e64 s[24:25], |v50|, s33
	v_mov_b32_e32 v10, v20
	v_mad_u64_u32 v[13:14], s[12:13], v4, s66, v[10:11]
	v_cndmask_b32_e32 v18, v19, v18, vcc
	buffer_store_dword v50, off, s[84:87], 0 offset:144 ; 4-byte Folded Spill
	v_mov_b32_e32 v10, v14
	v_mad_u64_u32 v[16:17], s[12:13], v4, s67, v[10:11]
	v_cmp_lt_f32_e64 s[18:19], |v49|, s33
	v_rcp_f32_e32 v62, v33
	v_mov_b32_e32 v10, v17
	v_mad_u64_u32 v[34:35], s[12:13], v4, s68, v[10:11]
	v_cmp_lt_i32_e64 s[0:1], 12, v53
	v_mov_b32_e32 v10, v35
	v_mad_u64_u32 v[35:36], s[12:13], v4, s69, v[10:11]
	v_cndmask_b32_e32 v5, v34, v13, vcc
	v_cndmask_b32_e32 v4, v35, v16, vcc
	;; [unrolled: 1-line block ×3, first 2 shown]
	v_cndmask_b32_e64 v7, v4, v5, s[6:7]
	v_cndmask_b32_e64 v4, v10, v4, s[6:7]
	v_cndmask_b32_e32 v10, v16, v19, vcc
	v_cndmask_b32_e64 v5, v5, v10, s[6:7]
	v_cndmask_b32_e64 v4, v4, v7, s[8:9]
	;; [unrolled: 1-line block ×3, first 2 shown]
	v_alignbit_b32 v7, v4, v14, v0
	v_cndmask_b32_e64 v7, v7, v4, s[10:11]
	v_cndmask_b32_e32 v4, v13, v12, vcc
	v_cndmask_b32_e64 v10, v10, v4, s[6:7]
	v_cndmask_b32_e64 v5, v5, v10, s[8:9]
	v_alignbit_b32 v12, v14, v5, v0
	v_cndmask_b32_e64 v12, v12, v14, s[10:11]
	v_bfe_u32 v16, v7, 29, 1
	v_cndmask_b32_e64 v4, v4, v18, s[6:7]
	v_alignbit_b32 v13, v7, v12, 30
	v_sub_u32_e32 v17, 0, v16
	v_cndmask_b32_e64 v4, v10, v4, s[8:9]
	v_xor_b32_e32 v13, v13, v17
	v_alignbit_b32 v0, v5, v4, v0
	v_cndmask_b32_e64 v0, v0, v5, s[10:11]
	v_ffbh_u32_e32 v10, v13
	v_alignbit_b32 v5, v12, v0, 30
	v_min_u32_e32 v10, 32, v10
	v_alignbit_b32 v0, v0, v4, 30
	v_xor_b32_e32 v5, v5, v17
	v_sub_u32_e32 v12, 31, v10
	v_xor_b32_e32 v0, v0, v17
	v_alignbit_b32 v13, v13, v5, v12
	v_alignbit_b32 v0, v5, v0, v12
	;; [unrolled: 1-line block ×3, first 2 shown]
	v_ffbh_u32_e32 v5, v4
	v_min_u32_e32 v5, 32, v5
	v_lshrrev_b32_e32 v14, 29, v7
	v_not_b32_e32 v12, v5
	v_alignbit_b32 v0, v4, v0, v12
	v_lshlrev_b32_e32 v4, 31, v14
	v_or_b32_e32 v12, 0x33000000, v4
	v_add_lshl_u32 v5, v5, v10, 23
	v_lshrrev_b32_e32 v0, 9, v0
	v_sub_u32_e32 v5, v12, v5
	v_or_b32_e32 v4, 0.5, v4
	v_lshlrev_b32_e32 v10, 23, v10
	v_or_b32_e32 v0, v5, v0
	v_lshrrev_b32_e32 v5, 9, v13
	v_sub_u32_e32 v4, v4, v10
	v_or_b32_e32 v4, v5, v4
	v_mul_f32_e32 v5, 0x3fc90fda, v4
	v_fma_f32 v10, v4, s70, -v5
	v_fmac_f32_e32 v10, 0x33a22168, v4
	v_fmac_f32_e32 v10, 0x3fc90fda, v0
	v_lshrrev_b32_e32 v4, 30, v7
	v_add_f32_e32 v0, v5, v10
	v_add_u32_e32 v7, v16, v4
	v_mul_f32_e64 v4, |v49|, s71
	v_and_b32_e32 v5, 0x7fffffff, v50
	v_rndne_f32_e32 v4, v4
	v_lshrrev_b32_e32 v3, 23, v5
	v_fma_f32 v12, v4, s72, |v49|
	v_add_u32_e32 v3, 0xffffff88, v3
	v_fmac_f32_e32 v12, 0xb3a22168, v4
	v_cmp_lt_u32_e32 vcc, 63, v3
	v_fmac_f32_e32 v12, 0xa7c234c4, v4
	v_cvt_i32_f32_e32 v31, v4
	v_cndmask_b32_e32 v4, 0, v60, vcc
	v_add_u32_e32 v3, v4, v3
	v_cmp_lt_u32_e64 s[8:9], 31, v3
	v_cndmask_b32_e64 v4, 0, v63, s[8:9]
	v_add_u32_e32 v3, v4, v3
	v_cmp_lt_u32_e64 s[10:11], 31, v3
	v_cndmask_b32_e64 v4, 0, v63, s[10:11]
	v_add_u32_e32 v3, v4, v3
	v_and_b32_e32 v4, 0x7fffff, v5
	v_or_b32_e32 v4, 0x800000, v4
	v_mad_u64_u32 v[18:19], s[14:15], v4, s63, 0
	buffer_store_dword v5, off, s[84:87], 0 offset:172 ; 4-byte Folded Spill
	v_cmp_eq_u32_e64 s[12:13], 0, v3
	v_mov_b32_e32 v10, v19
	v_mad_u64_u32 v[13:14], s[14:15], v4, s64, v[10:11]
	v_cmp_class_f32_e64 s[6:7], v49, s73
	v_mov_b32_e32 v10, v14
	v_mad_u64_u32 v[19:20], s[14:15], v4, s65, v[10:11]
	v_mov_b32_e32 v10, v20
	v_mad_u64_u32 v[16:17], s[14:15], v4, s66, v[10:11]
	v_cndmask_b32_e32 v18, v19, v18, vcc
	v_mov_b32_e32 v10, v17
	v_mad_u64_u32 v[34:35], s[14:15], v4, s67, v[10:11]
	v_mov_b32_e32 v10, v35
	v_mad_u64_u32 v[35:36], s[14:15], v4, s68, v[10:11]
	;; [unrolled: 2-line block ×3, first 2 shown]
	v_cndmask_b32_e32 v5, v35, v16, vcc
	v_cndmask_b32_e32 v4, v38, v34, vcc
	;; [unrolled: 1-line block ×3, first 2 shown]
	v_cndmask_b32_e64 v10, v4, v5, s[8:9]
	v_cndmask_b32_e64 v4, v14, v4, s[8:9]
	v_cndmask_b32_e32 v14, v34, v19, vcc
	v_cndmask_b32_e64 v5, v5, v14, s[8:9]
	v_cndmask_b32_e64 v4, v4, v10, s[10:11]
	;; [unrolled: 1-line block ×3, first 2 shown]
	v_sub_u32_e32 v10, 32, v3
	v_alignbit_b32 v3, v4, v17, v10
	v_cndmask_b32_e64 v3, v3, v4, s[12:13]
	v_cndmask_b32_e32 v4, v16, v13, vcc
	v_cndmask_b32_e64 v13, v14, v4, s[8:9]
	v_cndmask_b32_e64 v5, v5, v13, s[10:11]
	v_alignbit_b32 v14, v17, v5, v10
	v_cndmask_b32_e64 v14, v14, v17, s[12:13]
	v_bfe_u32 v20, v3, 29, 1
	v_cndmask_b32_e64 v4, v4, v18, s[8:9]
	v_alignbit_b32 v16, v3, v14, 30
	v_sub_u32_e32 v29, 0, v20
	v_cndmask_b32_e64 v4, v13, v4, s[10:11]
	v_xor_b32_e32 v16, v16, v29
	v_alignbit_b32 v10, v5, v4, v10
	v_cndmask_b32_e64 v5, v10, v5, s[12:13]
	v_ffbh_u32_e32 v13, v16
	v_alignbit_b32 v10, v14, v5, 30
	v_min_u32_e32 v13, 32, v13
	v_alignbit_b32 v4, v5, v4, 30
	v_xor_b32_e32 v10, v10, v29
	v_sub_u32_e32 v14, 31, v13
	v_xor_b32_e32 v4, v4, v29
	v_alignbit_b32 v16, v16, v10, v14
	v_alignbit_b32 v4, v10, v4, v14
	;; [unrolled: 1-line block ×3, first 2 shown]
	v_ffbh_u32_e32 v10, v5
	v_min_u32_e32 v10, 32, v10
	v_lshrrev_b32_e32 v17, 29, v3
	v_not_b32_e32 v14, v10
	v_alignbit_b32 v4, v5, v4, v14
	v_lshlrev_b32_e32 v5, 31, v17
	v_or_b32_e32 v14, 0x33000000, v5
	v_add_lshl_u32 v10, v10, v13, 23
	v_lshrrev_b32_e32 v4, 9, v4
	v_sub_u32_e32 v10, v14, v10
	v_or_b32_e32 v5, 0.5, v5
	v_lshlrev_b32_e32 v13, 23, v13
	v_or_b32_e32 v4, v10, v4
	v_lshrrev_b32_e32 v10, 9, v16
	v_sub_u32_e32 v5, v5, v13
	v_lshrrev_b32_e32 v3, 30, v3
	v_or_b32_e32 v5, v10, v5
	v_add_u32_e32 v35, v20, v3
	v_mul_f32_e64 v3, |v50|, s71
	v_mul_f32_e32 v10, 0x3fc90fda, v5
	v_rndne_f32_e32 v3, v3
	v_fma_f32 v13, v5, s70, -v10
	v_fma_f32 v40, v3, s72, |v50|
	v_fmac_f32_e32 v13, 0x33a22168, v5
	v_fmac_f32_e32 v40, 0xb3a22168, v3
	;; [unrolled: 1-line block ×4, first 2 shown]
	v_cvt_i32_f32_e32 v43, v3
	v_fma_f32 v3, v2, v2, v24
	v_add_f32_e32 v32, v10, v13
	v_cvt_f64_f32_e64 v[13:14], |v3|
	v_add_f32_e32 v4, v2, v2
	v_mul_f32_e32 v4, v2, v4
	v_cmp_eq_f32_e64 vcc, |v3|, |v4|
	v_bfi_b32 v5, s60, 0, v3
	v_cndmask_b32_e32 v16, v3, v5, vcc
	v_frexp_exp_i32_f64_e32 v5, v[13:14]
	v_cvt_f64_f32_e64 v[13:14], |v4|
	v_frexp_mant_f32_e64 v10, |v3|
	v_ldexp_f32 v10, v10, 12
	buffer_store_dword v10, off, s[84:87], 0 offset:140 ; 4-byte Folded Spill
	v_frexp_exp_i32_f64_e32 v10, v[13:14]
	v_cmp_gt_f32_e64 s[38:39], |v3|, |v4|
	v_cmp_class_f32_e64 s[14:15], v3, s73
	v_cmp_eq_f32_e64 s[12:13], 0, v4
	v_cmp_o_f32_e32 vcc, v4, v4
	s_and_b64 s[14:15], vcc, s[14:15]
	v_cmp_class_f32_e64 s[8:9], v50, s73
	v_mov_b32_e32 v50, 0x7fc00000
	v_sub_u32_e32 v38, v5, v10
	v_and_b32_e32 v5, 0x80000000, v3
	v_fma_f32 v3, -v2, v2, 1.0
	v_mul_f32_e32 v29, v3, v24
	v_cndmask_b32_e64 v3, v15, v48, s[16:17]
	v_add_u32_e32 v13, -1, v10
	buffer_store_dword v5, off, s[84:87], 0 offset:180 ; 4-byte Folded Spill
	v_mul_f32_e32 v5, v3, v3
	v_mov_b32_e32 v10, 0x3c0881c4
	v_fmac_f32_e32 v10, 0xb94c1982, v5
	v_fma_f32 v10, v5, v10, v25
	v_mul_f32_e32 v10, v5, v10
	v_fmac_f32_e32 v3, v3, v10
	v_mov_b32_e32 v10, 0xbab64f3b
	v_fmac_f32_e32 v10, 0x37d75334, v5
	v_fma_f32 v10, v5, v10, v51
	buffer_store_dword v13, off, s[84:87], 0 offset:176 ; 4-byte Folded Spill
	v_frexp_mant_f32_e64 v13, |v4|
	v_cndmask_b32_e64 v4, v55, v47, s[16:17]
	v_fma_f32 v10, v5, v10, v26
	v_fma_f32 v5, v5, v10, 1.0
	v_and_b32_e32 v10, 1, v4
	v_lshlrev_b32_e32 v4, 30, v4
	v_cmp_eq_u32_e32 vcc, 0, v10
	v_and_b32_e32 v4, 0x80000000, v4
	v_cndmask_b32_e32 v3, v5, v3, vcc
	v_xor_b32_e32 v4, v4, v42
	v_xor_b32_e32 v3, v4, v3
	;; [unrolled: 1-line block ×3, first 2 shown]
	v_cndmask_b32_e64 v3, v50, v3, s[20:21]
	v_mul_f32_e32 v20, v2, v2
	v_fma_f32 v48, v2, v3, v22
	v_cndmask_b32_e64 v2, v44, v30, s[22:23]
	v_mul_f32_e32 v4, v2, v2
	v_mov_b32_e32 v5, 0x3c0881c4
	v_fmac_f32_e32 v5, 0xb94c1982, v4
	v_fma_f32 v5, v4, v5, v25
	v_mul_f32_e32 v5, v4, v5
	v_fmac_f32_e32 v2, v2, v5
	v_mov_b32_e32 v5, 0xbab64f3b
	v_fmac_f32_e32 v5, 0x37d75334, v4
	v_fma_f32 v5, v4, v5, v51
	v_cndmask_b32_e64 v3, v61, v27, s[22:23]
	v_fma_f32 v5, v4, v5, v26
	v_fma_f32 v4, v4, v5, 1.0
	v_and_b32_e32 v5, 1, v3
	v_lshlrev_b32_e32 v3, 30, v3
	v_cmp_eq_u32_e32 vcc, 0, v5
	v_and_b32_e32 v3, 0x80000000, v3
	v_cndmask_b32_e32 v2, v4, v2, vcc
	v_xor_b32_e32 v3, v3, v9
	v_xor_b32_e32 v2, v3, v2
	;; [unrolled: 1-line block ×3, first 2 shown]
	v_cndmask_b32_e64 v2, v50, v2, s[34:35]
	v_fma_f32 v47, v58, v2, v23
	v_div_scale_f32 v2, s[16:17], v20, v20, v23
	v_ldexp_f32 v34, v13, 1
	v_mov_b32_e32 v25, 0x3c0881c4
	v_rcp_f32_e32 v36, v34
	v_cmp_lt_i32_e64 s[10:11], 12, v38
	s_mov_b32 s60, s61
	v_rcp_f32_e32 v3, v2
	v_fma_f32 v4, -v2, v3, 1.0
	v_fmac_f32_e32 v3, v4, v3
	v_div_scale_f32 v4, vcc, v23, v20, v23
	v_mul_f32_e32 v5, v4, v3
	v_fma_f32 v8, -v2, v5, v4
	v_fmac_f32_e32 v5, v8, v3
	v_fma_f32 v2, -v2, v5, v4
	v_div_fmas_f32 v2, v2, v3, v5
	v_div_fixup_f32 v30, v2, v20, v23
	v_and_b32_e32 v27, 0x7fffffff, v30
	v_lshrrev_b32_e32 v2, 23, v27
	v_add_u32_e32 v2, 0xffffff88, v2
	v_cmp_lt_u32_e64 s[26:27], 63, v2
	v_cndmask_b32_e64 v3, 0, v60, s[26:27]
	v_add_u32_e32 v2, v3, v2
	v_cmp_lt_u32_e32 vcc, 31, v2
	v_cndmask_b32_e32 v3, 0, v63, vcc
	v_add_u32_e32 v2, v3, v2
	v_cmp_lt_u32_e64 s[16:17], 31, v2
	v_cndmask_b32_e64 v3, 0, v63, s[16:17]
	v_add_u32_e32 v4, v3, v2
	v_and_b32_e32 v2, 0x7fffff, v27
	v_or_b32_e32 v5, 0x800000, v2
	v_mad_u64_u32 v[2:3], s[28:29], v5, s63, 0
	v_cmp_eq_u32_e64 s[22:23], 0, v4
	v_cmp_lt_f32_e64 s[20:21], |v30|, s33
	v_mov_b32_e32 v10, v3
	v_mad_u64_u32 v[8:9], s[28:29], v5, s64, v[10:11]
	v_mov_b32_e32 v10, v9
	v_mad_u64_u32 v[18:19], s[28:29], v5, s65, v[10:11]
	;; [unrolled: 2-line block ×3, first 2 shown]
	v_cndmask_b32_e64 v2, v18, v2, s[26:27]
	v_mad_u64_u32 v[13:14], s[28:29], v5, s67, v[10:11]
	v_mov_b32_e32 v10, v14
	v_mad_u64_u32 v[14:15], s[28:29], v5, s68, v[10:11]
	v_mov_b32_e32 v10, v15
	v_mad_u64_u32 v[41:42], s[28:29], v5, s69, v[10:11]
	v_cndmask_b32_e64 v3, v14, v9, s[26:27]
	v_cndmask_b32_e64 v15, v9, v8, s[26:27]
	;; [unrolled: 1-line block ×5, first 2 shown]
	v_cndmask_b32_e32 v10, v5, v3, vcc
	v_cndmask_b32_e32 v5, v14, v5, vcc
	;; [unrolled: 1-line block ×3, first 2 shown]
	v_cndmask_b32_e64 v5, v5, v10, s[16:17]
	v_cndmask_b32_e64 v19, v10, v14, s[16:17]
	v_sub_u32_e32 v10, 32, v4
	v_cndmask_b32_e32 v17, v13, v15, vcc
	v_alignbit_b32 v3, v5, v19, v10
	v_cndmask_b32_e64 v14, v14, v17, s[16:17]
	v_cndmask_b32_e64 v3, v3, v5, s[22:23]
	v_alignbit_b32 v4, v19, v14, v10
	v_cndmask_b32_e64 v19, v4, v19, s[22:23]
	v_bfe_u32 v8, v3, 29, 1
	v_alignbit_b32 v4, v3, v19, 30
	v_sub_u32_e32 v13, 0, v8
	v_cndmask_b32_e32 v2, v15, v2, vcc
	v_xor_b32_e32 v39, v4, v13
	v_cndmask_b32_e64 v4, v17, v2, s[16:17]
	v_alignbit_b32 v2, v14, v4, v10
	v_cndmask_b32_e64 v5, v2, v14, s[22:23]
	v_alignbit_b32 v2, v19, v5, 30
	v_xor_b32_e32 v14, v2, v13
	v_ffbh_u32_e32 v2, v39
	v_min_u32_e32 v2, 32, v2
	v_alignbit_b32 v4, v5, v4, 30
	v_sub_u32_e32 v15, 31, v2
	v_xor_b32_e32 v4, v4, v13
	v_alignbit_b32 v10, v39, v14, v15
	v_alignbit_b32 v4, v14, v4, v15
	;; [unrolled: 1-line block ×3, first 2 shown]
	v_ffbh_u32_e32 v13, v5
	v_min_u32_e32 v14, 32, v13
	v_not_b32_e32 v13, v14
	v_lshrrev_b32_e32 v9, 29, v3
	v_alignbit_b32 v4, v5, v4, v13
	v_lshrrev_b32_e32 v13, 9, v4
	v_lshlrev_b32_e32 v4, 31, v9
	v_or_b32_e32 v5, 0x33000000, v4
	v_add_lshl_u32 v9, v14, v2, 23
	v_or_b32_e32 v4, 0.5, v4
	v_lshlrev_b32_e32 v2, 23, v2
	v_sub_u32_e32 v5, v5, v9
	v_lshrrev_b32_e32 v9, 9, v10
	v_sub_u32_e32 v2, v4, v2
	v_or_b32_e32 v2, v9, v2
	v_mul_f32_e32 v4, 0x3fc90fda, v2
	v_fma_f32 v9, v2, s70, -v4
	v_fmac_f32_e32 v9, 0x33a22168, v2
	v_lshrrev_b32_e32 v2, 30, v3
	v_add_u32_e32 v39, v8, v2
	v_mul_f32_e64 v2, |v30|, s71
	v_rndne_f32_e32 v2, v2
	v_fma_f32 v44, v2, s72, |v30|
	v_fmac_f32_e32 v44, 0xb3a22168, v2
	v_fmac_f32_e32 v44, 0xa7c234c4, v2
	v_cvt_i32_f32_e32 v46, v2
	v_mul_f32_e32 v2, v58, v58
	v_div_scale_f32 v3, s[16:17], v2, v2, v22
	v_or_b32_e32 v5, v5, v13
	v_fmac_f32_e32 v9, 0x3fc90fda, v5
	v_add_f32_e32 v41, v4, v9
	v_cmp_class_f32_e64 s[22:23], v30, s73
	v_rcp_f32_e32 v4, v3
	v_fma_f32 v5, -v3, v4, 1.0
	v_fmac_f32_e32 v4, v5, v4
	v_div_scale_f32 v5, vcc, v22, v2, v22
	v_mul_f32_e32 v8, v5, v4
	v_fma_f32 v9, -v3, v8, v5
	v_fmac_f32_e32 v8, v9, v4
	v_fma_f32 v3, -v3, v8, v5
	v_div_fmas_f32 v3, v3, v4, v8
	v_div_fixup_f32 v9, v3, v2, v22
	v_and_b32_e32 v8, 0x7fffffff, v9
	v_lshrrev_b32_e32 v2, 23, v8
	v_add_u32_e32 v2, 0xffffff88, v2
	v_cmp_lt_u32_e64 s[16:17], 63, v2
	v_cndmask_b32_e64 v3, 0, v60, s[16:17]
	v_add_u32_e32 v2, v3, v2
	v_cmp_lt_u32_e64 s[26:27], 31, v2
	v_cndmask_b32_e64 v3, 0, v63, s[26:27]
	;; [unrolled: 3-line block ×3, first 2 shown]
	v_add_u32_e32 v4, v3, v2
	v_and_b32_e32 v2, 0x7fffff, v8
	v_or_b32_e32 v5, 0x800000, v2
	v_mad_u64_u32 v[2:3], s[34:35], v5, s63, 0
	v_cmp_eq_u32_e64 s[30:31], 0, v4
	v_sub_u32_e32 v4, 32, v4
	v_mov_b32_e32 v10, v3
	v_mad_u64_u32 v[13:14], s[34:35], v5, s64, v[10:11]
	v_cmp_lt_f32_e64 vcc, |v9|, s33
	v_mov_b32_e32 v10, v14
	v_mad_u64_u32 v[14:15], s[34:35], v5, s65, v[10:11]
	v_mov_b32_e32 v10, v15
	v_mad_u64_u32 v[17:18], s[34:35], v5, s66, v[10:11]
	v_cndmask_b32_e64 v2, v14, v2, s[16:17]
	v_mov_b32_e32 v10, v18
	v_mad_u64_u32 v[18:19], s[34:35], v5, s67, v[10:11]
	v_cndmask_b32_e64 v13, v17, v13, s[16:17]
	v_cndmask_b32_e64 v2, v13, v2, s[26:27]
	v_mov_b32_e32 v10, v19
	v_mad_u64_u32 v[55:56], s[34:35], v5, s68, v[10:11]
	v_mov_b32_e32 v10, v56
	v_mad_u64_u32 v[58:59], s[34:35], v5, s69, v[10:11]
	v_cndmask_b32_e64 v3, v55, v17, s[16:17]
	v_cndmask_b32_e64 v5, v58, v18, s[16:17]
	;; [unrolled: 1-line block ×10, first 2 shown]
	v_alignbit_b32 v18, v5, v10, v4
	v_cndmask_b32_e64 v3, v3, v15, s[28:29]
	v_cndmask_b32_e64 v5, v18, v5, s[30:31]
	v_alignbit_b32 v17, v10, v3, v4
	v_cndmask_b32_e64 v10, v17, v10, s[30:31]
	v_bfe_u32 v19, v5, 29, 1
	v_cndmask_b32_e64 v2, v15, v2, s[28:29]
	v_alignbit_b32 v17, v5, v10, 30
	v_sub_u32_e32 v42, 0, v19
	v_alignbit_b32 v4, v3, v2, v4
	v_xor_b32_e32 v17, v17, v42
	v_cndmask_b32_e64 v3, v4, v3, s[30:31]
	v_alignbit_b32 v4, v10, v3, 30
	v_ffbh_u32_e32 v10, v17
	v_min_u32_e32 v10, 32, v10
	v_alignbit_b32 v2, v3, v2, 30
	v_xor_b32_e32 v4, v4, v42
	v_sub_u32_e32 v13, 31, v10
	v_xor_b32_e32 v2, v2, v42
	v_alignbit_b32 v14, v17, v4, v13
	v_alignbit_b32 v2, v4, v2, v13
	;; [unrolled: 1-line block ×3, first 2 shown]
	v_ffbh_u32_e32 v4, v3
	v_min_u32_e32 v4, 32, v4
	v_lshrrev_b32_e32 v18, 29, v5
	v_not_b32_e32 v13, v4
	v_alignbit_b32 v2, v3, v2, v13
	v_lshlrev_b32_e32 v3, 31, v18
	v_or_b32_e32 v13, 0x33000000, v3
	v_add_lshl_u32 v4, v4, v10, 23
	v_lshrrev_b32_e32 v2, 9, v2
	v_sub_u32_e32 v4, v13, v4
	v_or_b32_e32 v3, 0.5, v3
	v_lshlrev_b32_e32 v10, 23, v10
	v_or_b32_e32 v2, v4, v2
	v_lshrrev_b32_e32 v4, 9, v14
	v_sub_u32_e32 v3, v3, v10
	v_or_b32_e32 v3, v4, v3
	v_mul_f32_e32 v4, 0x3fc90fda, v3
	v_fma_f32 v10, v3, s70, -v4
	v_fmac_f32_e32 v10, 0x33a22168, v3
	v_fmac_f32_e32 v10, 0x3fc90fda, v2
	v_lshrrev_b32_e32 v2, 30, v5
	v_add_f32_e32 v13, v4, v10
	v_add_u32_e32 v10, v19, v2
	v_mul_f32_e64 v2, |v9|, s71
	v_rndne_f32_e32 v2, v2
	v_fma_f32 v15, v2, s72, |v9|
	v_fmac_f32_e32 v15, 0xb3a22168, v2
	v_fmac_f32_e32 v15, 0xa7c234c4, v2
	v_cvt_i32_f32_e32 v14, v2
	v_cndmask_b32_e64 v2, v0, v12, s[18:19]
	v_mul_f32_e32 v3, v2, v2
	v_mov_b32_e32 v4, 0x3c0881c4
	v_fmac_f32_e32 v4, 0xb94c1982, v3
	v_mov_b32_e32 v12, 0xbe2aaa9d
	v_fma_f32 v4, v3, v4, v12
	v_mul_f32_e32 v4, v3, v4
	v_fmac_f32_e32 v2, v2, v4
	v_mov_b32_e32 v4, 0xbab64f3b
	v_fmac_f32_e32 v4, 0x37d75334, v3
	v_cndmask_b32_e64 v0, v7, v31, s[18:19]
	v_fma_f32 v4, v3, v4, v51
	v_fma_f32 v4, v3, v4, v26
	v_and_b32_e32 v17, 1, v0
	v_fma_f32 v3, v3, v4, 1.0
	v_cmp_eq_u32_e64 s[18:19], 0, v17
	v_lshlrev_b32_e32 v0, 30, v0
	v_cndmask_b32_e64 v4, -v2, v3, s[18:19]
	v_and_b32_e32 v18, 0x80000000, v0
	v_cndmask_b32_e64 v7, v32, v40, s[24:25]
	v_xor_b32_e32 v0, v18, v4
	v_mul_f32_e32 v4, v7, v7
	v_mov_b32_e32 v5, 0x3c0881c4
	v_fmac_f32_e32 v5, 0xb94c1982, v4
	v_fma_f32 v5, v4, v5, v12
	v_mul_f32_e32 v5, v4, v5
	v_fmac_f32_e32 v7, v7, v5
	v_mov_b32_e32 v5, 0xbab64f3b
	v_cndmask_b32_e64 v0, v50, v0, s[6:7]
	v_fmac_f32_e32 v5, 0x37d75334, v4
	buffer_store_dword v0, off, s[84:87], 0 offset:184 ; 4-byte Folded Spill
	v_cndmask_b32_e64 v0, v35, v43, s[24:25]
	v_fma_f32 v5, v4, v5, v51
	v_fma_f32 v5, v4, v5, v26
	v_and_b32_e32 v43, 1, v0
	v_fma_f32 v42, v4, v5, 1.0
	v_cmp_eq_u32_e64 s[18:19], 0, v43
	v_lshlrev_b32_e32 v0, 30, v0
	v_cndmask_b32_e64 v4, -v7, v42, s[18:19]
	v_and_b32_e32 v12, 0x80000000, v0
	v_xor_b32_e32 v0, v12, v4
	v_cndmask_b32_e64 v0, v50, v0, s[8:9]
	buffer_store_dword v0, off, s[84:87], 0 offset:188 ; 4-byte Folded Spill
	v_cndmask_b32_e64 v0, v41, v44, s[20:21]
	v_mul_f32_e32 v5, v0, v0
	v_mov_b32_e32 v19, 0xbe2aaa9d
	v_fmac_f32_e32 v25, 0xb94c1982, v5
	v_fma_f32 v25, v5, v25, v19
	v_mul_f32_e32 v25, v5, v25
	v_fmac_f32_e32 v0, v0, v25
	v_mov_b32_e32 v25, 0xbab64f3b
	v_fmac_f32_e32 v25, 0x37d75334, v5
	v_fma_f32 v25, v5, v25, v51
	v_cndmask_b32_e64 v4, v39, v46, s[20:21]
	v_fma_f32 v25, v5, v25, v26
	v_fma_f32 v5, v5, v25, 1.0
	v_and_b32_e32 v25, 1, v4
	v_lshlrev_b32_e32 v4, 30, v4
	v_cmp_eq_u32_e64 s[18:19], 0, v25
	v_and_b32_e32 v4, 0x80000000, v4
	v_cndmask_b32_e64 v0, v5, v0, s[18:19]
	v_xor_b32_e32 v4, v4, v30
	v_xor_b32_e32 v0, v4, v0
	v_xor_b32_e32 v0, v0, v27
	v_cndmask_b32_e64 v0, v50, v0, s[22:23]
	v_fma_f32 v41, v1, v0, v22
	v_cndmask_b32_e32 v0, v13, v15, vcc
	v_mul_f32_e32 v4, v0, v0
	v_mov_b32_e32 v5, 0x3c0881c4
	v_fmac_f32_e32 v5, 0xb94c1982, v4
	v_fma_f32 v5, v4, v5, v19
	v_mul_f32_e32 v5, v4, v5
	v_fmac_f32_e32 v0, v0, v5
	v_mov_b32_e32 v5, 0xbab64f3b
	v_fmac_f32_e32 v5, 0x37d75334, v4
	v_fma_f32 v5, v4, v5, v51
	v_mov_b32_e32 v51, 0xbf000004
	v_cndmask_b32_e32 v1, v10, v14, vcc
	v_fma_f32 v5, v4, v5, v51
	v_fma_f32 v4, v4, v5, 1.0
	v_and_b32_e32 v5, 1, v1
	v_lshlrev_b32_e32 v1, 30, v1
	v_cmp_eq_u32_e32 vcc, 0, v5
	v_and_b32_e32 v1, 0x80000000, v1
	v_cndmask_b32_e32 v0, v4, v0, vcc
	v_xor_b32_e32 v1, v1, v9
	v_xor_b32_e32 v0, v1, v0
	v_cmp_class_f32_e64 s[16:17], v9, s73
	v_xor_b32_e32 v0, v0, v8
	v_cndmask_b32_e64 v0, v50, v0, s[16:17]
	v_mov_b32_e32 v31, 0xbe2aaa9d
	v_mov_b32_e32 v26, 0x3d2aabf7
	v_fma_f32 v8, v57, v0, v23
	v_mov_b32_e32 v13, 0
	v_mov_b32_e32 v9, 0
	;; [unrolled: 1-line block ×3, first 2 shown]
                                        ; implicit-def: $vgpr25
                                        ; implicit-def: $vgpr15
	s_branch .LBB1_29
.LBB1_22:                               ;   in Loop: Header=BB1_29 Depth=1
	s_or_b64 exec, exec, s[28:29]
	s_waitcnt vmcnt(1)
	v_mov_b32_e32 v1, v25
	s_waitcnt vmcnt(0)
	v_mov_b32_e32 v10, v15
.LBB1_23:                               ;   in Loop: Header=BB1_29 Depth=1
	s_or_b64 exec, exec, s[26:27]
.LBB1_24:                               ;   in Loop: Header=BB1_29 Depth=1
	s_or_b64 exec, exec, s[20:21]
.LBB1_25:                               ;   in Loop: Header=BB1_29 Depth=1
	s_or_b64 exec, exec, s[18:19]
.LBB1_26:                               ;   in Loop: Header=BB1_29 Depth=1
	s_or_b64 exec, exec, s[16:17]
	s_waitcnt vmcnt(0)
	v_mov_b32_e32 v15, v10
	v_mov_b32_e32 v25, v1
.LBB1_27:                               ;   in Loop: Header=BB1_29 Depth=1
	s_or_b64 exec, exec, s[24:25]
	s_waitcnt vmcnt(0)
	v_fmac_f32_e32 v9, v14, v15
	v_fmac_f32_e32 v13, v14, v25
.LBB1_28:                               ;   in Loop: Header=BB1_29 Depth=1
	s_or_b64 exec, exec, s[22:23]
	s_add_i32 s60, s60, 1
	s_cmp_lg_u32 s60, 5
	s_cbranch_scc0 .LBB1_247
.LBB1_29:                               ; =>This Loop Header: Depth=1
                                        ;     Child Loop BB1_149 Depth 2
                                        ;     Child Loop BB1_162 Depth 2
	s_lshl_b64 s[16:17], s[60:61], 3
	v_mov_b32_e32 v1, s17
	v_add_co_u32_e32 v0, vcc, s16, v45
	v_addc_co_u32_e32 v1, vcc, v54, v1, vcc
	global_load_dword v14, v[0:1], off offset:4
	s_waitcnt vmcnt(0)
	v_cmp_nlt_f32_e64 s[16:17], |v14|, s48
	s_and_saveexec_b64 s[22:23], s[16:17]
	s_cbranch_execz .LBB1_28
; %bb.30:                               ;   in Loop: Header=BB1_29 Depth=1
	global_load_dword v0, v[0:1], off
	s_waitcnt vmcnt(0)
	v_cmp_lt_i32_e32 vcc, 17, v0
	s_and_saveexec_b64 s[16:17], vcc
	s_xor_b64 s[24:25], exec, s[16:17]
	s_cbranch_execz .LBB1_176
; %bb.31:                               ;   in Loop: Header=BB1_29 Depth=1
	v_cmp_lt_i32_e32 vcc, 33, v0
	s_and_saveexec_b64 s[16:17], vcc
	s_xor_b64 s[26:27], exec, s[16:17]
	s_cbranch_execz .LBB1_117
; %bb.32:                               ;   in Loop: Header=BB1_29 Depth=1
	;; [unrolled: 5-line block ×6, first 2 shown]
	v_cmp_eq_u32_e32 vcc, 48, v0
	s_and_saveexec_b64 s[18:19], vcc
	s_cbranch_execz .LBB1_38
; %bb.37:                               ;   in Loop: Header=BB1_29 Depth=1
	buffer_load_dword v25, off, s[84:87], 0 offset:280 ; 4-byte Folded Reload
	buffer_load_dword v15, off, s[84:87], 0 offset:276 ; 4-byte Folded Reload
.LBB1_38:                               ;   in Loop: Header=BB1_29 Depth=1
	s_or_b64 exec, exec, s[18:19]
.LBB1_39:                               ;   in Loop: Header=BB1_29 Depth=1
	s_andn2_saveexec_b64 s[40:41], s[16:17]
	s_cbranch_execz .LBB1_49
; %bb.40:                               ;   in Loop: Header=BB1_29 Depth=1
	buffer_load_dword v0, off, s[84:87], 0  ; 4-byte Folded Reload
	buffer_load_dword v1, off, s[84:87], 0 offset:4 ; 4-byte Folded Reload
                                        ; implicit-def: $vgpr15
                                        ; implicit-def: $vgpr25
	s_waitcnt vmcnt(0)
	global_load_dword v0, v[0:1], off
	s_waitcnt vmcnt(0)
	v_mul_f32_e32 v0, v24, v0
	v_mul_f32_e32 v0, v14, v0
	v_and_b32_e32 v1, 0x7fffffff, v0
	v_lshrrev_b32_e32 v4, 23, v1
	v_and_b32_e32 v5, 0x7fffff, v1
	v_cmp_nlt_f32_e64 s[42:43], |v0|, s33
	v_add_u32_e32 v30, 0xffffff88, v4
	v_or_b32_e32 v27, 0x800000, v5
	s_and_saveexec_b64 s[16:17], s[42:43]
	s_xor_b64 s[44:45], exec, s[16:17]
	s_cbranch_execz .LBB1_42
; %bb.41:                               ;   in Loop: Header=BB1_29 Depth=1
	v_mad_u64_u32 v[4:5], s[16:17], v27, s63, 0
	v_cmp_lt_u32_e32 vcc, 63, v30
	v_mov_b32_e32 v10, v5
	v_mad_u64_u32 v[39:40], s[16:17], v27, s64, v[10:11]
	v_cndmask_b32_e32 v5, 0, v60, vcc
	v_add_u32_e32 v5, v5, v30
	v_mov_b32_e32 v10, v40
	v_mad_u64_u32 v[55:56], s[16:17], v27, s65, v[10:11]
	v_mov_b32_e32 v10, v56
	v_mad_u64_u32 v[56:57], s[16:17], v27, s66, v[10:11]
	v_cndmask_b32_e32 v4, v55, v4, vcc
	v_mov_b32_e32 v10, v57
	v_mad_u64_u32 v[57:58], s[16:17], v27, s67, v[10:11]
	v_cmp_lt_u32_e64 s[16:17], 31, v5
	v_cndmask_b32_e64 v10, 0, v63, s[16:17]
	v_add_u32_e32 v5, v10, v5
	v_mov_b32_e32 v10, v58
	v_mad_u64_u32 v[58:59], s[18:19], v27, s68, v[10:11]
	v_cmp_lt_u32_e64 s[18:19], 31, v5
	v_cndmask_b32_e64 v10, 0, v63, s[18:19]
	v_add_u32_e32 v5, v10, v5
	v_mov_b32_e32 v10, v59
	v_mad_u64_u32 v[61:62], s[20:21], v27, s69, v[10:11]
	v_cndmask_b32_e32 v10, v57, v55, vcc
	v_cndmask_b32_e32 v15, v58, v56, vcc
	;; [unrolled: 1-line block ×4, first 2 shown]
	v_cndmask_b32_e64 v25, v15, v10, s[16:17]
	v_cndmask_b32_e64 v15, v32, v15, s[16:17]
	;; [unrolled: 1-line block ×5, first 2 shown]
	v_sub_u32_e32 v35, 32, v5
	v_alignbit_b32 v40, v32, v15, v35
	v_cmp_eq_u32_e64 s[20:21], 0, v5
	v_cndmask_b32_e64 v5, v40, v32, s[20:21]
	v_cndmask_b32_e32 v32, v56, v39, vcc
	v_cndmask_b32_e64 v10, v10, v32, s[16:17]
	v_cndmask_b32_e64 v25, v25, v10, s[18:19]
	v_alignbit_b32 v39, v15, v25, v35
	v_cndmask_b32_e64 v15, v39, v15, s[20:21]
	v_bfe_u32 v44, v5, 29, 1
	v_cndmask_b32_e64 v4, v32, v4, s[16:17]
	v_alignbit_b32 v39, v5, v15, 30
	v_sub_u32_e32 v46, 0, v44
	v_cndmask_b32_e64 v4, v10, v4, s[18:19]
	v_xor_b32_e32 v39, v39, v46
	v_alignbit_b32 v10, v25, v4, v35
	v_cndmask_b32_e64 v10, v10, v25, s[20:21]
	v_ffbh_u32_e32 v25, v39
	v_alignbit_b32 v15, v15, v10, 30
	v_min_u32_e32 v25, 32, v25
	v_alignbit_b32 v4, v10, v4, 30
	v_xor_b32_e32 v15, v15, v46
	v_sub_u32_e32 v32, 31, v25
	v_xor_b32_e32 v4, v4, v46
	v_alignbit_b32 v35, v39, v15, v32
	v_alignbit_b32 v4, v15, v4, v32
	;; [unrolled: 1-line block ×3, first 2 shown]
	v_ffbh_u32_e32 v15, v10
	v_min_u32_e32 v15, 32, v15
	v_lshrrev_b32_e32 v40, 29, v5
	v_not_b32_e32 v32, v15
	v_alignbit_b32 v4, v10, v4, v32
	v_lshlrev_b32_e32 v10, 31, v40
	v_or_b32_e32 v32, 0x33000000, v10
	v_add_lshl_u32 v15, v15, v25, 23
	v_lshrrev_b32_e32 v4, 9, v4
	v_sub_u32_e32 v15, v32, v15
	v_or_b32_e32 v10, 0.5, v10
	v_lshlrev_b32_e32 v25, 23, v25
	v_or_b32_e32 v4, v15, v4
	v_lshrrev_b32_e32 v15, 9, v35
	v_sub_u32_e32 v10, v10, v25
	v_or_b32_e32 v10, v15, v10
	v_mul_f32_e32 v15, 0x3fc90fda, v10
	v_fma_f32 v25, v10, s70, -v15
	v_fmac_f32_e32 v25, 0x33a22168, v10
	v_fmac_f32_e32 v25, 0x3fc90fda, v4
	v_lshrrev_b32_e32 v4, 30, v5
	v_mov_b32_e32 v62, v19
	v_add_f32_e32 v25, v15, v25
	v_add_u32_e32 v15, v44, v4
.LBB1_42:                               ;   in Loop: Header=BB1_29 Depth=1
	s_or_saveexec_b64 s[16:17], s[44:45]
	v_mul_f32_e64 v4, |v0|, s71
	v_rndne_f32_e32 v35, v4
	s_xor_b64 exec, exec, s[16:17]
; %bb.43:                               ;   in Loop: Header=BB1_29 Depth=1
	v_cvt_i32_f32_e32 v15, v35
	v_fma_f32 v25, v35, s72, |v0|
	v_fmac_f32_e32 v25, 0xb3a22168, v35
	v_fmac_f32_e32 v25, 0xa7c234c4, v35
; %bb.44:                               ;   in Loop: Header=BB1_29 Depth=1
	s_or_b64 exec, exec, s[16:17]
                                        ; implicit-def: $vgpr10
                                        ; implicit-def: $vgpr32
	s_and_saveexec_b64 s[16:17], s[42:43]
	s_xor_b64 s[42:43], exec, s[16:17]
	s_cbranch_execz .LBB1_46
; %bb.45:                               ;   in Loop: Header=BB1_29 Depth=1
	v_mad_u64_u32 v[4:5], s[16:17], v27, s63, 0
	v_cmp_lt_u32_e32 vcc, 63, v30
	v_mov_b32_e32 v10, v5
	v_mad_u64_u32 v[39:40], s[16:17], v27, s64, v[10:11]
	v_cndmask_b32_e32 v5, 0, v60, vcc
	v_add_u32_e32 v5, v5, v30
	v_mov_b32_e32 v10, v40
	v_mad_u64_u32 v[55:56], s[16:17], v27, s65, v[10:11]
	v_mov_b32_e32 v10, v56
	v_mad_u64_u32 v[56:57], s[16:17], v27, s66, v[10:11]
	v_cndmask_b32_e32 v4, v55, v4, vcc
	v_mov_b32_e32 v10, v57
	v_mad_u64_u32 v[57:58], s[16:17], v27, s67, v[10:11]
	v_cmp_lt_u32_e64 s[16:17], 31, v5
	v_cndmask_b32_e64 v10, 0, v63, s[16:17]
	v_add_u32_e32 v5, v10, v5
	v_mov_b32_e32 v10, v58
	v_mad_u64_u32 v[58:59], s[18:19], v27, s68, v[10:11]
	v_cmp_lt_u32_e64 s[18:19], 31, v5
	v_cndmask_b32_e64 v10, 0, v63, s[18:19]
	v_add_u32_e32 v5, v10, v5
	v_mov_b32_e32 v10, v59
	v_mad_u64_u32 v[61:62], s[20:21], v27, s69, v[10:11]
	v_cndmask_b32_e32 v10, v57, v55, vcc
	v_cndmask_b32_e32 v27, v58, v56, vcc
	;; [unrolled: 1-line block ×4, first 2 shown]
	v_cndmask_b32_e64 v30, v27, v10, s[16:17]
	v_cndmask_b32_e64 v27, v32, v27, s[16:17]
	;; [unrolled: 1-line block ×5, first 2 shown]
	v_sub_u32_e32 v35, 32, v5
	v_alignbit_b32 v40, v32, v27, v35
	v_cmp_eq_u32_e64 s[20:21], 0, v5
	v_cndmask_b32_e64 v5, v40, v32, s[20:21]
	v_cndmask_b32_e32 v32, v56, v39, vcc
	v_cndmask_b32_e64 v10, v10, v32, s[16:17]
	v_cndmask_b32_e64 v30, v30, v10, s[18:19]
	v_alignbit_b32 v39, v27, v30, v35
	v_cndmask_b32_e64 v27, v39, v27, s[20:21]
	v_bfe_u32 v44, v5, 29, 1
	v_cndmask_b32_e64 v4, v32, v4, s[16:17]
	v_alignbit_b32 v39, v5, v27, 30
	v_sub_u32_e32 v46, 0, v44
	v_cndmask_b32_e64 v4, v10, v4, s[18:19]
	v_xor_b32_e32 v39, v39, v46
	v_alignbit_b32 v10, v30, v4, v35
	v_cndmask_b32_e64 v10, v10, v30, s[20:21]
	v_ffbh_u32_e32 v30, v39
	v_alignbit_b32 v27, v27, v10, 30
	v_min_u32_e32 v30, 32, v30
	v_alignbit_b32 v4, v10, v4, 30
	v_xor_b32_e32 v27, v27, v46
	v_sub_u32_e32 v32, 31, v30
	v_xor_b32_e32 v4, v4, v46
	v_alignbit_b32 v35, v39, v27, v32
	v_alignbit_b32 v4, v27, v4, v32
	;; [unrolled: 1-line block ×3, first 2 shown]
	v_ffbh_u32_e32 v27, v10
	v_min_u32_e32 v27, 32, v27
	v_lshrrev_b32_e32 v40, 29, v5
	v_not_b32_e32 v32, v27
	v_alignbit_b32 v4, v10, v4, v32
	v_lshlrev_b32_e32 v10, 31, v40
	v_or_b32_e32 v32, 0x33000000, v10
	v_add_lshl_u32 v27, v27, v30, 23
	v_lshrrev_b32_e32 v4, 9, v4
	v_sub_u32_e32 v27, v32, v27
	v_or_b32_e32 v10, 0.5, v10
	v_lshlrev_b32_e32 v30, 23, v30
	v_or_b32_e32 v4, v27, v4
	v_lshrrev_b32_e32 v27, 9, v35
	v_sub_u32_e32 v10, v10, v30
	v_or_b32_e32 v10, v27, v10
	v_mul_f32_e32 v27, 0x3fc90fda, v10
	v_fma_f32 v30, v10, s70, -v27
	v_fmac_f32_e32 v30, 0x33a22168, v10
	v_fmac_f32_e32 v30, 0x3fc90fda, v4
	v_lshrrev_b32_e32 v4, 30, v5
	v_mov_b32_e32 v62, v19
	v_add_f32_e32 v32, v27, v30
	v_add_u32_e32 v10, v44, v4
                                        ; implicit-def: $vgpr35
	s_andn2_saveexec_b64 s[16:17], s[42:43]
	s_cbranch_execnz .LBB1_47
	s_branch .LBB1_48
.LBB1_46:                               ;   in Loop: Header=BB1_29 Depth=1
	s_andn2_saveexec_b64 s[16:17], s[42:43]
.LBB1_47:                               ;   in Loop: Header=BB1_29 Depth=1
	v_cvt_i32_f32_e32 v10, v35
	v_fma_f32 v32, v35, s72, |v0|
	v_fmac_f32_e32 v32, 0xb3a22168, v35
	v_fmac_f32_e32 v32, 0xa7c234c4, v35
.LBB1_48:                               ;   in Loop: Header=BB1_29 Depth=1
	s_or_b64 exec, exec, s[16:17]
	v_mul_f32_e32 v4, v0, v0
	v_cmp_gt_f32_e32 vcc, s62, v4
	v_cndmask_b32_e64 v5, 0, 32, vcc
	v_ldexp_f32 v4, v4, v5
	v_log_f32_e32 v4, v4
	v_mov_b32_e32 v5, 0x411a209b
	v_cndmask_b32_e32 v5, 0, v5, vcc
	v_mov_b32_e32 v26, 0xbe2aaa9d
	v_mul_f32_e32 v27, 0x3e9a209a, v4
	v_fma_f32 v27, v4, s49, -v27
	v_fmac_f32_e32 v27, 0x3284fbcf, v4
	v_fmac_f32_e32 v27, 0x3e9a209a, v4
	v_cmp_lt_f32_e64 vcc, |v4|, s74
	v_cndmask_b32_e32 v4, v4, v27, vcc
	v_sub_f32_e32 v4, v4, v5
	v_mul_f32_e32 v5, v25, v25
	v_mov_b32_e32 v27, 0x3c0881c4
	v_fmac_f32_e32 v27, 0xb94c1982, v5
	v_fma_f32 v27, v5, v27, v26
	v_mul_f32_e32 v27, v5, v27
	v_fmac_f32_e32 v25, v25, v27
	v_mov_b32_e32 v27, 0xbab64f3b
	v_fmac_f32_e32 v27, 0x37d75334, v5
	v_mov_b32_e32 v30, 0x3d2aabf7
	v_fma_f32 v27, v5, v27, v30
	v_fma_f32 v27, v5, v27, v51
	v_fma_f32 v5, v5, v27, 1.0
	v_and_b32_e32 v27, 1, v15
	v_cmp_eq_u32_e32 vcc, 0, v27
	v_lshlrev_b32_e32 v15, 30, v15
	v_cndmask_b32_e64 v5, -v25, v5, vcc
	v_and_b32_e32 v15, 0x80000000, v15
	v_xor_b32_e32 v5, v15, v5
	v_cmp_class_f32_e64 vcc, v0, s73
	v_cndmask_b32_e32 v5, v50, v5, vcc
	v_add_f32_e32 v4, v4, v5
	v_mul_f32_e32 v5, v32, v32
	v_mov_b32_e32 v25, 0x3c0881c4
	v_fmac_f32_e32 v25, 0xb94c1982, v5
	v_fma_f32 v25, v5, v25, v26
	v_mul_f32_e32 v25, v5, v25
	v_fmac_f32_e32 v32, v32, v25
	v_mov_b32_e32 v25, 0xbab64f3b
	v_fmac_f32_e32 v25, 0x37d75334, v5
	v_fma_f32 v25, v5, v25, v30
	v_fma_f32 v25, v5, v25, v51
	v_fma_f32 v5, v5, v25, 1.0
	v_and_b32_e32 v25, 1, v10
	v_lshlrev_b32_e32 v10, 30, v10
	v_cmp_eq_u32_e64 s[16:17], 0, v25
	v_and_b32_e32 v10, 0x80000000, v10
	v_xor_b32_e32 v0, v1, v0
	v_cndmask_b32_e64 v5, v5, v32, s[16:17]
	v_xor_b32_e32 v0, v0, v10
	v_xor_b32_e32 v0, v0, v5
	v_mul_f32_e32 v0, 0x40490fdb, v0
	v_cndmask_b32_e32 v0, v50, v0, vcc
	v_mul_f32_e32 v15, v22, v4
	v_mov_b32_e32 v31, 0xbe2aaa9d
	v_mov_b32_e32 v26, 0x3d2aabf7
	v_sub_f32_e32 v25, v4, v0
.LBB1_49:                               ;   in Loop: Header=BB1_29 Depth=1
	s_or_b64 exec, exec, s[40:41]
.LBB1_50:                               ;   in Loop: Header=BB1_29 Depth=1
	s_andn2_saveexec_b64 s[34:35], s[34:35]
	s_cbranch_execz .LBB1_56
; %bb.51:                               ;   in Loop: Header=BB1_29 Depth=1
	v_mul_f32_e32 v0, v24, v14
	v_cmp_nlt_f32_e64 s[16:17], |v0|, s33
                                        ; implicit-def: $vgpr1
                                        ; implicit-def: $vgpr10
	s_and_saveexec_b64 s[18:19], s[16:17]
	s_xor_b64 s[40:41], exec, s[18:19]
	s_cbranch_execz .LBB1_53
; %bb.52:                               ;   in Loop: Header=BB1_29 Depth=1
	v_and_b32_e32 v1, 0x7fffffff, v0
	v_and_b32_e32 v4, 0x7fffff, v1
	s_waitcnt vmcnt(0)
	v_or_b32_e32 v15, 0x800000, v4
	v_mad_u64_u32 v[4:5], s[16:17], v15, s63, 0
	v_lshrrev_b32_e32 v1, 23, v1
	v_add_u32_e32 v1, 0xffffff88, v1
	v_mov_b32_e32 v10, v5
	v_mad_u64_u32 v[39:40], s[16:17], v15, s64, v[10:11]
	v_cmp_lt_u32_e32 vcc, 63, v1
	v_cndmask_b32_e32 v5, 0, v60, vcc
	v_mov_b32_e32 v10, v40
	v_mad_u64_u32 v[55:56], s[16:17], v15, s65, v[10:11]
	v_add_u32_e32 v1, v5, v1
	v_mov_b32_e32 v10, v56
	v_mad_u64_u32 v[56:57], s[16:17], v15, s66, v[10:11]
	v_cndmask_b32_e32 v4, v55, v4, vcc
	v_mov_b32_e32 v10, v57
	v_mad_u64_u32 v[57:58], s[16:17], v15, s67, v[10:11]
	v_mov_b32_e32 v10, v58
	v_mad_u64_u32 v[58:59], s[16:17], v15, s68, v[10:11]
	v_cmp_lt_u32_e64 s[16:17], 31, v1
	v_cndmask_b32_e64 v5, 0, v63, s[16:17]
	v_mov_b32_e32 v10, v59
	v_mad_u64_u32 v[61:62], s[18:19], v15, s69, v[10:11]
	v_add_u32_e32 v1, v5, v1
	v_cmp_lt_u32_e64 s[18:19], 31, v1
	v_cndmask_b32_e64 v5, 0, v63, s[18:19]
	v_add_u32_e32 v1, v5, v1
	v_cndmask_b32_e32 v5, v58, v56, vcc
	v_cndmask_b32_e32 v10, v61, v57, vcc
	;; [unrolled: 1-line block ×3, first 2 shown]
	v_cndmask_b32_e64 v25, v10, v5, s[16:17]
	v_cndmask_b32_e64 v10, v15, v10, s[16:17]
	v_cndmask_b32_e32 v15, v57, v55, vcc
	v_cndmask_b32_e64 v5, v5, v15, s[16:17]
	v_cndmask_b32_e64 v10, v10, v25, s[18:19]
	;; [unrolled: 1-line block ×3, first 2 shown]
	v_sub_u32_e32 v27, 32, v1
	v_alignbit_b32 v30, v10, v25, v27
	v_cmp_eq_u32_e64 s[20:21], 0, v1
	v_cndmask_b32_e64 v1, v30, v10, s[20:21]
	v_cndmask_b32_e32 v10, v56, v39, vcc
	v_cndmask_b32_e64 v15, v15, v10, s[16:17]
	v_cndmask_b32_e64 v5, v5, v15, s[18:19]
	v_alignbit_b32 v30, v25, v5, v27
	v_cndmask_b32_e64 v25, v30, v25, s[20:21]
	v_bfe_u32 v35, v1, 29, 1
	v_cndmask_b32_e64 v4, v10, v4, s[16:17]
	v_alignbit_b32 v30, v1, v25, 30
	v_sub_u32_e32 v39, 0, v35
	v_cndmask_b32_e64 v4, v15, v4, s[18:19]
	v_xor_b32_e32 v30, v30, v39
	v_alignbit_b32 v10, v5, v4, v27
	v_cndmask_b32_e64 v5, v10, v5, s[20:21]
	v_ffbh_u32_e32 v15, v30
	v_alignbit_b32 v10, v25, v5, 30
	v_min_u32_e32 v15, 32, v15
	v_alignbit_b32 v4, v5, v4, 30
	v_xor_b32_e32 v10, v10, v39
	v_sub_u32_e32 v25, 31, v15
	v_xor_b32_e32 v4, v4, v39
	v_alignbit_b32 v27, v30, v10, v25
	v_alignbit_b32 v4, v10, v4, v25
	;; [unrolled: 1-line block ×3, first 2 shown]
	v_ffbh_u32_e32 v10, v5
	v_min_u32_e32 v10, 32, v10
	v_lshrrev_b32_e32 v32, 29, v1
	v_not_b32_e32 v25, v10
	v_alignbit_b32 v4, v5, v4, v25
	v_lshlrev_b32_e32 v5, 31, v32
	v_or_b32_e32 v25, 0x33000000, v5
	v_add_lshl_u32 v10, v10, v15, 23
	v_lshrrev_b32_e32 v4, 9, v4
	v_sub_u32_e32 v10, v25, v10
	v_or_b32_e32 v5, 0.5, v5
	v_lshlrev_b32_e32 v15, 23, v15
	v_or_b32_e32 v4, v10, v4
	v_lshrrev_b32_e32 v10, 9, v27
	v_sub_u32_e32 v5, v5, v15
	v_or_b32_e32 v5, v10, v5
	v_mul_f32_e32 v10, 0x3fc90fda, v5
	v_fma_f32 v15, v5, s70, -v10
	v_fmac_f32_e32 v15, 0x33a22168, v5
	v_fmac_f32_e32 v15, 0x3fc90fda, v4
	v_lshrrev_b32_e32 v1, 30, v1
	v_mov_b32_e32 v62, v19
	v_add_f32_e32 v10, v10, v15
	v_add_u32_e32 v1, v35, v1
.LBB1_53:                               ;   in Loop: Header=BB1_29 Depth=1
	s_andn2_saveexec_b64 s[16:17], s[40:41]
; %bb.54:                               ;   in Loop: Header=BB1_29 Depth=1
	v_mul_f32_e64 v1, |v0|, s71
	v_rndne_f32_e32 v4, v1
	v_cvt_i32_f32_e32 v1, v4
	v_fma_f32 v10, v4, s72, |v0|
	v_fmac_f32_e32 v10, 0xb3a22168, v4
	v_fmac_f32_e32 v10, 0xa7c234c4, v4
; %bb.55:                               ;   in Loop: Header=BB1_29 Depth=1
	s_or_b64 exec, exec, s[16:17]
	v_mul_f32_e32 v4, v10, v10
	v_mov_b32_e32 v5, 0x3c0881c4
	v_fmac_f32_e32 v5, 0xb94c1982, v4
	v_fma_f32 v5, v4, v5, v31
	v_mul_f32_e32 v5, v4, v5
	v_fmac_f32_e32 v10, v10, v5
	v_mov_b32_e32 v5, 0xbab64f3b
	v_fmac_f32_e32 v5, 0x37d75334, v4
	v_fma_f32 v5, v4, v5, v26
	v_fma_f32 v5, v4, v5, v51
	v_fma_f32 v4, v4, v5, 1.0
	v_and_b32_e32 v5, 1, v1
	v_cmp_eq_u32_e32 vcc, 0, v5
	v_lshlrev_b32_e32 v1, 30, v1
	v_cndmask_b32_e64 v4, -v10, v4, vcc
	v_and_b32_e32 v1, 0x80000000, v1
	v_xor_b32_e32 v1, v1, v4
	v_cmp_class_f32_e64 vcc, v0, s73
	v_cndmask_b32_e32 v0, v50, v1, vcc
	v_mul_f32_e32 v0, v14, v0
	v_div_scale_f32 v1, s[16:17], v0, v0, 1.0
	v_div_scale_f32 v4, vcc, 1.0, v0, 1.0
	v_rcp_f32_e32 v5, v1
	v_fma_f32 v10, -v1, v5, 1.0
	v_fmac_f32_e32 v5, v10, v5
	v_mul_f32_e32 v10, v4, v5
	s_waitcnt vmcnt(0)
	v_fma_f32 v15, -v1, v10, v4
	v_fmac_f32_e32 v10, v15, v5
	v_fma_f32 v1, -v1, v10, v4
	v_div_fmas_f32 v1, v1, v5, v10
	v_mov_b32_e32 v15, v22
	v_div_fixup_f32 v25, v1, v0, 1.0
.LBB1_56:                               ;   in Loop: Header=BB1_29 Depth=1
	s_or_b64 exec, exec, s[34:35]
                                        ; implicit-def: $vgpr0
.LBB1_57:                               ;   in Loop: Header=BB1_29 Depth=1
	s_andn2_saveexec_b64 s[30:31], s[30:31]
	s_cbranch_execz .LBB1_83
; %bb.58:                               ;   in Loop: Header=BB1_29 Depth=1
	v_cmp_lt_i32_e32 vcc, 44, v0
                                        ; implicit-def: $vgpr25
                                        ; implicit-def: $vgpr15
	s_and_saveexec_b64 s[16:17], vcc
	s_xor_b64 s[34:35], exec, s[16:17]
	s_cbranch_execz .LBB1_76
; %bb.59:                               ;   in Loop: Header=BB1_29 Depth=1
	buffer_load_dword v0, off, s[84:87], 0  ; 4-byte Folded Reload
	buffer_load_dword v1, off, s[84:87], 0 offset:4 ; 4-byte Folded Reload
                                        ; implicit-def: $vgpr15
                                        ; implicit-def: $vgpr25
	s_waitcnt vmcnt(0)
	global_load_dword v0, v[0:1], off
	s_waitcnt vmcnt(0)
	v_mul_f32_e32 v0, v24, v0
	v_mul_f32_e32 v0, v14, v0
	v_and_b32_e32 v1, 0x7fffffff, v0
	v_lshrrev_b32_e32 v4, 23, v1
	v_and_b32_e32 v5, 0x7fffff, v1
	v_cmp_nlt_f32_e64 s[40:41], |v0|, s33
	v_add_u32_e32 v30, 0xffffff88, v4
	v_or_b32_e32 v27, 0x800000, v5
	s_and_saveexec_b64 s[16:17], s[40:41]
	s_xor_b64 s[42:43], exec, s[16:17]
	s_cbranch_execz .LBB1_61
; %bb.60:                               ;   in Loop: Header=BB1_29 Depth=1
	v_mad_u64_u32 v[4:5], s[16:17], v27, s63, 0
	v_cmp_lt_u32_e32 vcc, 63, v30
	v_mov_b32_e32 v10, v5
	v_mad_u64_u32 v[39:40], s[16:17], v27, s64, v[10:11]
	v_cndmask_b32_e32 v5, 0, v60, vcc
	v_add_u32_e32 v5, v5, v30
	v_mov_b32_e32 v10, v40
	v_mad_u64_u32 v[55:56], s[16:17], v27, s65, v[10:11]
	v_mov_b32_e32 v10, v56
	v_mad_u64_u32 v[56:57], s[16:17], v27, s66, v[10:11]
	v_cndmask_b32_e32 v4, v55, v4, vcc
	v_mov_b32_e32 v10, v57
	v_mad_u64_u32 v[57:58], s[16:17], v27, s67, v[10:11]
	v_cmp_lt_u32_e64 s[16:17], 31, v5
	v_cndmask_b32_e64 v10, 0, v63, s[16:17]
	v_add_u32_e32 v5, v10, v5
	v_mov_b32_e32 v10, v58
	v_mad_u64_u32 v[58:59], s[18:19], v27, s68, v[10:11]
	v_cmp_lt_u32_e64 s[18:19], 31, v5
	v_cndmask_b32_e64 v10, 0, v63, s[18:19]
	v_add_u32_e32 v5, v10, v5
	v_mov_b32_e32 v10, v59
	v_mad_u64_u32 v[61:62], s[20:21], v27, s69, v[10:11]
	v_cndmask_b32_e32 v10, v57, v55, vcc
	v_cndmask_b32_e32 v15, v58, v56, vcc
	v_cndmask_b32_e32 v32, v61, v57, vcc
	v_cndmask_b32_e32 v35, v62, v58, vcc
	v_cndmask_b32_e64 v25, v15, v10, s[16:17]
	v_cndmask_b32_e64 v15, v32, v15, s[16:17]
	;; [unrolled: 1-line block ×5, first 2 shown]
	v_sub_u32_e32 v35, 32, v5
	v_alignbit_b32 v40, v32, v15, v35
	v_cmp_eq_u32_e64 s[20:21], 0, v5
	v_cndmask_b32_e64 v5, v40, v32, s[20:21]
	v_cndmask_b32_e32 v32, v56, v39, vcc
	v_cndmask_b32_e64 v10, v10, v32, s[16:17]
	v_cndmask_b32_e64 v25, v25, v10, s[18:19]
	v_alignbit_b32 v39, v15, v25, v35
	v_cndmask_b32_e64 v15, v39, v15, s[20:21]
	v_bfe_u32 v44, v5, 29, 1
	v_cndmask_b32_e64 v4, v32, v4, s[16:17]
	v_alignbit_b32 v39, v5, v15, 30
	v_sub_u32_e32 v46, 0, v44
	v_cndmask_b32_e64 v4, v10, v4, s[18:19]
	v_xor_b32_e32 v39, v39, v46
	v_alignbit_b32 v10, v25, v4, v35
	v_cndmask_b32_e64 v10, v10, v25, s[20:21]
	v_ffbh_u32_e32 v25, v39
	v_alignbit_b32 v15, v15, v10, 30
	v_min_u32_e32 v25, 32, v25
	v_alignbit_b32 v4, v10, v4, 30
	v_xor_b32_e32 v15, v15, v46
	v_sub_u32_e32 v32, 31, v25
	v_xor_b32_e32 v4, v4, v46
	v_alignbit_b32 v35, v39, v15, v32
	v_alignbit_b32 v4, v15, v4, v32
	;; [unrolled: 1-line block ×3, first 2 shown]
	v_ffbh_u32_e32 v15, v10
	v_min_u32_e32 v15, 32, v15
	v_lshrrev_b32_e32 v40, 29, v5
	v_not_b32_e32 v32, v15
	v_alignbit_b32 v4, v10, v4, v32
	v_lshlrev_b32_e32 v10, 31, v40
	v_or_b32_e32 v32, 0x33000000, v10
	v_add_lshl_u32 v15, v15, v25, 23
	v_lshrrev_b32_e32 v4, 9, v4
	v_sub_u32_e32 v15, v32, v15
	v_or_b32_e32 v10, 0.5, v10
	v_lshlrev_b32_e32 v25, 23, v25
	v_or_b32_e32 v4, v15, v4
	v_lshrrev_b32_e32 v15, 9, v35
	v_sub_u32_e32 v10, v10, v25
	v_or_b32_e32 v10, v15, v10
	v_mul_f32_e32 v15, 0x3fc90fda, v10
	v_fma_f32 v25, v10, s70, -v15
	v_fmac_f32_e32 v25, 0x33a22168, v10
	v_fmac_f32_e32 v25, 0x3fc90fda, v4
	v_lshrrev_b32_e32 v4, 30, v5
	v_mov_b32_e32 v62, v19
	v_add_f32_e32 v25, v15, v25
	v_add_u32_e32 v15, v44, v4
.LBB1_61:                               ;   in Loop: Header=BB1_29 Depth=1
	s_or_saveexec_b64 s[16:17], s[42:43]
	v_mul_f32_e64 v4, |v0|, s71
	v_rndne_f32_e32 v39, v4
	s_xor_b64 exec, exec, s[16:17]
; %bb.62:                               ;   in Loop: Header=BB1_29 Depth=1
	v_cvt_i32_f32_e32 v15, v39
	v_fma_f32 v25, v39, s72, |v0|
	v_fmac_f32_e32 v25, 0xb3a22168, v39
	v_fmac_f32_e32 v25, 0xa7c234c4, v39
; %bb.63:                               ;   in Loop: Header=BB1_29 Depth=1
	s_or_b64 exec, exec, s[16:17]
                                        ; implicit-def: $vgpr32
                                        ; implicit-def: $vgpr35
	s_and_saveexec_b64 s[16:17], s[40:41]
	s_xor_b64 s[42:43], exec, s[16:17]
	s_cbranch_execz .LBB1_65
; %bb.64:                               ;   in Loop: Header=BB1_29 Depth=1
	v_mad_u64_u32 v[4:5], s[16:17], v27, s63, 0
	v_cmp_lt_u32_e32 vcc, 63, v30
	v_mov_b32_e32 v10, v5
	v_mad_u64_u32 v[55:56], s[16:17], v27, s64, v[10:11]
	v_cndmask_b32_e32 v5, 0, v60, vcc
	v_add_u32_e32 v5, v5, v30
	v_mov_b32_e32 v10, v56
	v_mad_u64_u32 v[56:57], s[16:17], v27, s65, v[10:11]
	v_mov_b32_e32 v10, v57
	v_mad_u64_u32 v[57:58], s[16:17], v27, s66, v[10:11]
	v_cndmask_b32_e32 v4, v56, v4, vcc
	v_mov_b32_e32 v10, v58
	v_mad_u64_u32 v[58:59], s[16:17], v27, s67, v[10:11]
	v_cmp_lt_u32_e64 s[16:17], 31, v5
	v_cndmask_b32_e64 v10, 0, v63, s[16:17]
	v_add_u32_e32 v5, v10, v5
	v_mov_b32_e32 v10, v59
	v_mad_u64_u32 v[61:62], s[18:19], v27, s68, v[10:11]
	v_cmp_lt_u32_e64 s[18:19], 31, v5
	v_cndmask_b32_e64 v10, 0, v63, s[18:19]
	v_add_u32_e32 v5, v10, v5
	v_mov_b32_e32 v10, v62
	v_mad_u64_u32 v[62:63], s[20:21], v27, s69, v[10:11]
	v_cndmask_b32_e32 v10, v58, v56, vcc
	v_cndmask_b32_e32 v32, v61, v57, vcc
	;; [unrolled: 1-line block ×4, first 2 shown]
	v_cndmask_b32_e64 v35, v32, v10, s[16:17]
	v_cndmask_b32_e64 v32, v40, v32, s[16:17]
	;; [unrolled: 1-line block ×5, first 2 shown]
	v_sub_u32_e32 v44, 32, v5
	v_alignbit_b32 v46, v40, v32, v44
	v_cmp_eq_u32_e64 s[20:21], 0, v5
	v_cndmask_b32_e64 v5, v46, v40, s[20:21]
	v_cndmask_b32_e32 v40, v57, v55, vcc
	v_cndmask_b32_e64 v10, v10, v40, s[16:17]
	v_cndmask_b32_e64 v35, v35, v10, s[18:19]
	v_alignbit_b32 v46, v32, v35, v44
	v_cndmask_b32_e64 v32, v46, v32, s[20:21]
	v_bfe_u32 v57, v5, 29, 1
	v_cndmask_b32_e64 v4, v40, v4, s[16:17]
	v_alignbit_b32 v46, v5, v32, 30
	v_sub_u32_e32 v58, 0, v57
	v_cndmask_b32_e64 v4, v10, v4, s[18:19]
	v_xor_b32_e32 v46, v46, v58
	v_alignbit_b32 v10, v35, v4, v44
	v_cndmask_b32_e64 v10, v10, v35, s[20:21]
	v_ffbh_u32_e32 v35, v46
	v_alignbit_b32 v32, v32, v10, 30
	v_min_u32_e32 v35, 32, v35
	v_alignbit_b32 v4, v10, v4, 30
	v_xor_b32_e32 v32, v32, v58
	v_sub_u32_e32 v40, 31, v35
	v_xor_b32_e32 v4, v4, v58
	v_alignbit_b32 v44, v46, v32, v40
	v_alignbit_b32 v4, v32, v4, v40
	;; [unrolled: 1-line block ×3, first 2 shown]
	v_ffbh_u32_e32 v32, v10
	v_min_u32_e32 v32, 32, v32
	v_lshrrev_b32_e32 v55, 29, v5
	v_not_b32_e32 v40, v32
	v_alignbit_b32 v4, v10, v4, v40
	v_lshlrev_b32_e32 v10, 31, v55
	v_or_b32_e32 v40, 0x33000000, v10
	v_add_lshl_u32 v32, v32, v35, 23
	v_lshrrev_b32_e32 v4, 9, v4
	v_sub_u32_e32 v32, v40, v32
	v_or_b32_e32 v10, 0.5, v10
	v_lshlrev_b32_e32 v35, 23, v35
	v_or_b32_e32 v4, v32, v4
	v_lshrrev_b32_e32 v32, 9, v44
	v_sub_u32_e32 v10, v10, v35
	v_or_b32_e32 v10, v32, v10
	v_mul_f32_e32 v32, 0x3fc90fda, v10
	v_fma_f32 v35, v10, s70, -v32
	v_fmac_f32_e32 v35, 0x33a22168, v10
	v_fmac_f32_e32 v35, 0x3fc90fda, v4
	v_lshrrev_b32_e32 v4, 30, v5
	v_mov_b32_e32 v62, v19
	v_not_b32_e32 v63, 31
	v_add_f32_e32 v35, v32, v35
	v_add_u32_e32 v32, v57, v4
	s_andn2_saveexec_b64 s[16:17], s[42:43]
	s_branch .LBB1_66
.LBB1_65:                               ;   in Loop: Header=BB1_29 Depth=1
	s_andn2_saveexec_b64 s[16:17], s[42:43]
.LBB1_66:                               ;   in Loop: Header=BB1_29 Depth=1
	v_cvt_i32_f32_e32 v32, v39
	v_fma_f32 v35, v39, s72, |v0|
	v_fmac_f32_e32 v35, 0xb3a22168, v39
	v_fmac_f32_e32 v35, 0xa7c234c4, v39
; %bb.67:                               ;   in Loop: Header=BB1_29 Depth=1
	s_or_b64 exec, exec, s[16:17]
                                        ; implicit-def: $vgpr40
                                        ; implicit-def: $vgpr44
	s_and_saveexec_b64 s[16:17], s[40:41]
	s_xor_b64 s[42:43], exec, s[16:17]
	s_cbranch_execz .LBB1_69
; %bb.68:                               ;   in Loop: Header=BB1_29 Depth=1
	v_mad_u64_u32 v[4:5], s[16:17], v27, s63, 0
	v_cmp_lt_u32_e32 vcc, 63, v30
	v_mov_b32_e32 v10, v5
	v_mad_u64_u32 v[55:56], s[16:17], v27, s64, v[10:11]
	v_cndmask_b32_e32 v5, 0, v60, vcc
	v_add_u32_e32 v5, v5, v30
	v_mov_b32_e32 v10, v56
	v_mad_u64_u32 v[56:57], s[16:17], v27, s65, v[10:11]
	v_mov_b32_e32 v10, v57
	v_mad_u64_u32 v[57:58], s[16:17], v27, s66, v[10:11]
	v_cndmask_b32_e32 v4, v56, v4, vcc
	v_mov_b32_e32 v10, v58
	v_mad_u64_u32 v[58:59], s[16:17], v27, s67, v[10:11]
	v_cmp_lt_u32_e64 s[16:17], 31, v5
	v_cndmask_b32_e64 v10, 0, v63, s[16:17]
	v_add_u32_e32 v5, v10, v5
	v_mov_b32_e32 v10, v59
	v_mad_u64_u32 v[61:62], s[18:19], v27, s68, v[10:11]
	v_cmp_lt_u32_e64 s[18:19], 31, v5
	v_cndmask_b32_e64 v10, 0, v63, s[18:19]
	v_add_u32_e32 v5, v10, v5
	v_mov_b32_e32 v10, v62
	v_mad_u64_u32 v[62:63], s[20:21], v27, s69, v[10:11]
	v_cndmask_b32_e32 v10, v58, v56, vcc
	v_cndmask_b32_e32 v40, v61, v57, vcc
	;; [unrolled: 1-line block ×4, first 2 shown]
	v_cndmask_b32_e64 v44, v40, v10, s[16:17]
	v_cndmask_b32_e64 v40, v46, v40, s[16:17]
	;; [unrolled: 1-line block ×5, first 2 shown]
	v_sub_u32_e32 v58, 32, v5
	v_alignbit_b32 v59, v46, v40, v58
	v_cmp_eq_u32_e64 s[20:21], 0, v5
	v_cndmask_b32_e64 v5, v59, v46, s[20:21]
	v_cndmask_b32_e32 v46, v57, v55, vcc
	v_cndmask_b32_e64 v10, v10, v46, s[16:17]
	v_cndmask_b32_e64 v44, v44, v10, s[18:19]
	v_alignbit_b32 v55, v40, v44, v58
	v_cndmask_b32_e64 v40, v55, v40, s[20:21]
	v_bfe_u32 v59, v5, 29, 1
	v_cndmask_b32_e64 v4, v46, v4, s[16:17]
	v_alignbit_b32 v55, v5, v40, 30
	v_sub_u32_e32 v61, 0, v59
	v_cndmask_b32_e64 v4, v10, v4, s[18:19]
	v_xor_b32_e32 v55, v55, v61
	v_alignbit_b32 v10, v44, v4, v58
	v_cndmask_b32_e64 v10, v10, v44, s[20:21]
	v_ffbh_u32_e32 v44, v55
	v_alignbit_b32 v40, v40, v10, 30
	v_min_u32_e32 v44, 32, v44
	v_alignbit_b32 v4, v10, v4, 30
	v_xor_b32_e32 v40, v40, v61
	v_sub_u32_e32 v46, 31, v44
	v_xor_b32_e32 v4, v4, v61
	v_alignbit_b32 v55, v55, v40, v46
	v_alignbit_b32 v4, v40, v4, v46
	;; [unrolled: 1-line block ×3, first 2 shown]
	v_ffbh_u32_e32 v40, v10
	v_min_u32_e32 v40, 32, v40
	v_lshrrev_b32_e32 v57, 29, v5
	v_not_b32_e32 v46, v40
	v_alignbit_b32 v4, v10, v4, v46
	v_lshlrev_b32_e32 v10, 31, v57
	v_or_b32_e32 v46, 0x33000000, v10
	v_add_lshl_u32 v40, v40, v44, 23
	v_lshrrev_b32_e32 v4, 9, v4
	v_sub_u32_e32 v40, v46, v40
	v_or_b32_e32 v10, 0.5, v10
	v_lshlrev_b32_e32 v44, 23, v44
	v_or_b32_e32 v4, v40, v4
	v_lshrrev_b32_e32 v40, 9, v55
	v_sub_u32_e32 v10, v10, v44
	v_or_b32_e32 v10, v40, v10
	v_mul_f32_e32 v40, 0x3fc90fda, v10
	v_fma_f32 v44, v10, s70, -v40
	v_fmac_f32_e32 v44, 0x33a22168, v10
	v_fmac_f32_e32 v44, 0x3fc90fda, v4
	v_lshrrev_b32_e32 v4, 30, v5
	v_mov_b32_e32 v62, v19
	v_not_b32_e32 v63, 31
	v_add_f32_e32 v44, v40, v44
	v_add_u32_e32 v40, v59, v4
	s_andn2_saveexec_b64 s[16:17], s[42:43]
	s_branch .LBB1_70
.LBB1_69:                               ;   in Loop: Header=BB1_29 Depth=1
	s_andn2_saveexec_b64 s[16:17], s[42:43]
.LBB1_70:                               ;   in Loop: Header=BB1_29 Depth=1
	v_cvt_i32_f32_e32 v40, v39
	v_fma_f32 v44, v39, s72, |v0|
	v_fmac_f32_e32 v44, 0xb3a22168, v39
	v_fmac_f32_e32 v44, 0xa7c234c4, v39
; %bb.71:                               ;   in Loop: Header=BB1_29 Depth=1
	s_or_b64 exec, exec, s[16:17]
                                        ; implicit-def: $vgpr10
                                        ; implicit-def: $vgpr46
	s_and_saveexec_b64 s[16:17], s[40:41]
	s_xor_b64 s[40:41], exec, s[16:17]
	s_cbranch_execz .LBB1_73
; %bb.72:                               ;   in Loop: Header=BB1_29 Depth=1
	v_mad_u64_u32 v[4:5], s[16:17], v27, s63, 0
	v_cmp_lt_u32_e32 vcc, 63, v30
	v_mov_b32_e32 v10, v5
	v_mad_u64_u32 v[55:56], s[16:17], v27, s64, v[10:11]
	v_cndmask_b32_e32 v5, 0, v60, vcc
	v_add_u32_e32 v5, v5, v30
	v_mov_b32_e32 v10, v56
	v_mad_u64_u32 v[56:57], s[16:17], v27, s65, v[10:11]
	v_mov_b32_e32 v10, v57
	v_mad_u64_u32 v[57:58], s[16:17], v27, s66, v[10:11]
	v_cndmask_b32_e32 v4, v56, v4, vcc
	v_mov_b32_e32 v10, v58
	v_mad_u64_u32 v[58:59], s[16:17], v27, s67, v[10:11]
	v_cmp_lt_u32_e64 s[16:17], 31, v5
	v_cndmask_b32_e64 v10, 0, v63, s[16:17]
	v_add_u32_e32 v5, v10, v5
	v_mov_b32_e32 v10, v59
	v_mad_u64_u32 v[61:62], s[18:19], v27, s68, v[10:11]
	v_cmp_lt_u32_e64 s[18:19], 31, v5
	v_cndmask_b32_e64 v10, 0, v63, s[18:19]
	v_add_u32_e32 v5, v10, v5
	v_mov_b32_e32 v10, v62
	v_mad_u64_u32 v[62:63], s[20:21], v27, s69, v[10:11]
	v_cndmask_b32_e32 v10, v58, v56, vcc
	v_cndmask_b32_e32 v27, v61, v57, vcc
	;; [unrolled: 1-line block ×4, first 2 shown]
	v_cndmask_b32_e64 v30, v27, v10, s[16:17]
	v_cndmask_b32_e64 v27, v39, v27, s[16:17]
	;; [unrolled: 1-line block ×5, first 2 shown]
	v_sub_u32_e32 v46, 32, v5
	v_alignbit_b32 v58, v39, v27, v46
	v_cmp_eq_u32_e64 s[20:21], 0, v5
	v_cndmask_b32_e64 v5, v58, v39, s[20:21]
	v_cndmask_b32_e32 v39, v57, v55, vcc
	v_cndmask_b32_e64 v10, v10, v39, s[16:17]
	v_cndmask_b32_e64 v30, v30, v10, s[18:19]
	v_alignbit_b32 v55, v27, v30, v46
	v_cndmask_b32_e64 v27, v55, v27, s[20:21]
	v_bfe_u32 v58, v5, 29, 1
	v_cndmask_b32_e64 v4, v39, v4, s[16:17]
	v_alignbit_b32 v55, v5, v27, 30
	v_sub_u32_e32 v59, 0, v58
	v_cndmask_b32_e64 v4, v10, v4, s[18:19]
	v_xor_b32_e32 v55, v55, v59
	v_alignbit_b32 v10, v30, v4, v46
	v_cndmask_b32_e64 v10, v10, v30, s[20:21]
	v_ffbh_u32_e32 v30, v55
	v_alignbit_b32 v27, v27, v10, 30
	v_min_u32_e32 v30, 32, v30
	v_alignbit_b32 v4, v10, v4, 30
	v_xor_b32_e32 v27, v27, v59
	v_sub_u32_e32 v39, 31, v30
	v_xor_b32_e32 v4, v4, v59
	v_alignbit_b32 v46, v55, v27, v39
	v_alignbit_b32 v4, v27, v4, v39
	v_alignbit_b32 v10, v46, v4, 9
	v_ffbh_u32_e32 v27, v10
	v_min_u32_e32 v27, 32, v27
	v_lshrrev_b32_e32 v57, 29, v5
	v_not_b32_e32 v39, v27
	v_alignbit_b32 v4, v10, v4, v39
	v_lshlrev_b32_e32 v10, 31, v57
	v_or_b32_e32 v39, 0x33000000, v10
	v_add_lshl_u32 v27, v27, v30, 23
	v_lshrrev_b32_e32 v4, 9, v4
	v_sub_u32_e32 v27, v39, v27
	v_or_b32_e32 v10, 0.5, v10
	v_lshlrev_b32_e32 v30, 23, v30
	v_or_b32_e32 v4, v27, v4
	v_lshrrev_b32_e32 v27, 9, v46
	v_sub_u32_e32 v10, v10, v30
	v_or_b32_e32 v10, v27, v10
	v_mul_f32_e32 v27, 0x3fc90fda, v10
	v_fma_f32 v30, v10, s70, -v27
	v_fmac_f32_e32 v30, 0x33a22168, v10
	v_fmac_f32_e32 v30, 0x3fc90fda, v4
	v_lshrrev_b32_e32 v4, 30, v5
	v_mov_b32_e32 v62, v19
	v_not_b32_e32 v63, 31
	v_add_f32_e32 v46, v27, v30
	v_add_u32_e32 v10, v58, v4
                                        ; implicit-def: $vgpr39
	s_andn2_saveexec_b64 s[16:17], s[40:41]
	s_cbranch_execnz .LBB1_74
	s_branch .LBB1_75
.LBB1_73:                               ;   in Loop: Header=BB1_29 Depth=1
	s_andn2_saveexec_b64 s[16:17], s[40:41]
.LBB1_74:                               ;   in Loop: Header=BB1_29 Depth=1
	v_cvt_i32_f32_e32 v10, v39
	v_fma_f32 v46, v39, s72, |v0|
	v_fmac_f32_e32 v46, 0xb3a22168, v39
	v_fmac_f32_e32 v46, 0xa7c234c4, v39
.LBB1_75:                               ;   in Loop: Header=BB1_29 Depth=1
	s_or_b64 exec, exec, s[16:17]
	v_mul_f32_e32 v4, v44, v44
	v_mov_b32_e32 v5, 0x3c0881c4
	v_fmac_f32_e32 v5, 0xb94c1982, v4
	v_mov_b32_e32 v26, 0xbe2aaa9d
	v_fma_f32 v5, v4, v5, v26
	v_mul_f32_e32 v5, v4, v5
	v_fmac_f32_e32 v44, v44, v5
	v_mov_b32_e32 v5, 0xbab64f3b
	v_fmac_f32_e32 v5, 0x37d75334, v4
	v_mov_b32_e32 v30, 0x3d2aabf7
	v_fma_f32 v5, v4, v5, v30
	v_fma_f32 v5, v4, v5, v51
	v_fma_f32 v4, v4, v5, 1.0
	v_and_b32_e32 v5, 1, v40
	v_cmp_eq_u32_e32 vcc, 0, v5
	v_lshlrev_b32_e32 v5, 30, v40
	v_cndmask_b32_e64 v4, -v44, v4, vcc
	v_and_b32_e32 v5, 0x80000000, v5
	v_xor_b32_e32 v4, v5, v4
	v_mul_f32_e32 v5, v25, v25
	v_mov_b32_e32 v27, 0x3c0881c4
	v_fmac_f32_e32 v27, 0xb94c1982, v5
	v_fma_f32 v27, v5, v27, v26
	v_mul_f32_e32 v27, v5, v27
	v_fmac_f32_e32 v25, v25, v27
	v_mov_b32_e32 v27, 0xbab64f3b
	v_fmac_f32_e32 v27, 0x37d75334, v5
	v_fma_f32 v27, v5, v27, v30
	v_fma_f32 v27, v5, v27, v51
	v_fma_f32 v5, v5, v27, 1.0
	v_and_b32_e32 v27, 1, v15
	v_cmp_eq_u32_e32 vcc, 0, v27
	v_lshlrev_b32_e32 v15, 30, v15
	v_cndmask_b32_e64 v5, -v25, v5, vcc
	v_and_b32_e32 v15, 0x80000000, v15
	v_xor_b32_e32 v5, v15, v5
	v_mul_f32_e32 v15, v35, v35
	v_mov_b32_e32 v25, 0x3c0881c4
	v_fmac_f32_e32 v25, 0xb94c1982, v15
	v_fma_f32 v25, v15, v25, v26
	v_mul_f32_e32 v25, v15, v25
	v_fmac_f32_e32 v35, v35, v25
	v_mov_b32_e32 v25, 0xbab64f3b
	v_fmac_f32_e32 v25, 0x37d75334, v15
	v_fma_f32 v25, v15, v25, v30
	v_fma_f32 v25, v15, v25, v51
	v_fma_f32 v15, v15, v25, 1.0
	v_and_b32_e32 v25, 1, v32
	v_cmp_eq_u32_e32 vcc, 0, v25
	v_lshlrev_b32_e32 v25, 30, v32
	v_and_b32_e32 v25, 0x80000000, v25
	v_cndmask_b32_e32 v15, v15, v35, vcc
	v_xor_b32_e32 v25, v1, v25
	v_xor_b32_e32 v15, v25, v15
	;; [unrolled: 1-line block ×3, first 2 shown]
	v_add_f32_e32 v5, v5, v15
	v_cmp_class_f32_e64 vcc, v0, s73
	v_cndmask_b32_e32 v5, v50, v5, vcc
	v_mul_f32_e32 v15, v22, v5
	v_mul_f32_e32 v5, v46, v46
	v_mov_b32_e32 v25, 0x3c0881c4
	v_fmac_f32_e32 v25, 0xb94c1982, v5
	v_fma_f32 v25, v5, v25, v26
	v_mul_f32_e32 v25, v5, v25
	v_fmac_f32_e32 v46, v46, v25
	v_mov_b32_e32 v25, 0xbab64f3b
	v_fmac_f32_e32 v25, 0x37d75334, v5
	v_fma_f32 v25, v5, v25, v30
	v_fma_f32 v25, v5, v25, v51
	v_fma_f32 v5, v5, v25, 1.0
	v_and_b32_e32 v25, 1, v10
	v_lshlrev_b32_e32 v10, 30, v10
	v_cmp_eq_u32_e64 s[16:17], 0, v25
	v_and_b32_e32 v10, 0x80000000, v10
	v_cndmask_b32_e64 v5, v5, v46, s[16:17]
	v_xor_b32_e32 v1, v1, v10
	v_xor_b32_e32 v1, v1, v5
	;; [unrolled: 1-line block ×3, first 2 shown]
	v_sub_f32_e32 v0, v4, v0
	v_cndmask_b32_e32 v0, v50, v0, vcc
	v_mov_b32_e32 v31, 0xbe2aaa9d
	v_mov_b32_e32 v26, 0x3d2aabf7
	v_mul_f32_e32 v25, v22, v0
.LBB1_76:                               ;   in Loop: Header=BB1_29 Depth=1
	s_andn2_saveexec_b64 s[34:35], s[34:35]
	s_cbranch_execz .LBB1_82
; %bb.77:                               ;   in Loop: Header=BB1_29 Depth=1
	buffer_load_dword v0, off, s[84:87], 0  ; 4-byte Folded Reload
	buffer_load_dword v1, off, s[84:87], 0 offset:4 ; 4-byte Folded Reload
                                        ; implicit-def: $vgpr15
                                        ; implicit-def: $vgpr10
	s_waitcnt vmcnt(0)
	global_load_dword v0, v[0:1], off
	s_waitcnt vmcnt(0)
	v_mul_f32_e32 v0, 0x40490fdb, v0
	v_mul_f32_e32 v0, v14, v0
	v_and_b32_e32 v1, 0x7fffffff, v0
	v_cmp_nlt_f32_e64 s[16:17], |v0|, s33
	s_and_saveexec_b64 s[18:19], s[16:17]
	s_xor_b64 s[40:41], exec, s[18:19]
	s_cbranch_execz .LBB1_79
; %bb.78:                               ;   in Loop: Header=BB1_29 Depth=1
	v_and_b32_e32 v4, 0x7fffff, v1
	v_or_b32_e32 v15, 0x800000, v4
	v_mad_u64_u32 v[4:5], s[16:17], v15, s63, 0
	v_mov_b32_e32 v10, v5
	v_mad_u64_u32 v[39:40], s[16:17], v15, s64, v[10:11]
	v_lshrrev_b32_e32 v5, 23, v1
	v_add_u32_e32 v5, 0xffffff88, v5
	v_mov_b32_e32 v10, v40
	v_mad_u64_u32 v[55:56], s[16:17], v15, s65, v[10:11]
	v_cmp_lt_u32_e32 vcc, 63, v5
	v_mov_b32_e32 v10, v56
	v_mad_u64_u32 v[56:57], s[16:17], v15, s66, v[10:11]
	v_cndmask_b32_e32 v4, v55, v4, vcc
	v_mov_b32_e32 v10, v57
	v_mad_u64_u32 v[57:58], s[16:17], v15, s67, v[10:11]
	v_cndmask_b32_e32 v10, 0, v60, vcc
	v_add_u32_e32 v5, v10, v5
	v_mov_b32_e32 v10, v58
	v_mad_u64_u32 v[58:59], s[16:17], v15, s68, v[10:11]
	v_cmp_lt_u32_e64 s[16:17], 31, v5
	v_cndmask_b32_e64 v10, 0, v63, s[16:17]
	v_add_u32_e32 v5, v10, v5
	v_mov_b32_e32 v10, v59
	v_mad_u64_u32 v[61:62], s[18:19], v15, s69, v[10:11]
	v_cmp_lt_u32_e64 s[18:19], 31, v5
	v_cndmask_b32_e64 v10, 0, v63, s[18:19]
	v_add_u32_e32 v5, v10, v5
	v_cndmask_b32_e32 v10, v58, v56, vcc
	v_cndmask_b32_e32 v15, v61, v57, vcc
	v_cndmask_b32_e32 v25, v62, v58, vcc
	v_cndmask_b32_e64 v27, v15, v10, s[16:17]
	v_cndmask_b32_e64 v15, v25, v15, s[16:17]
	v_cndmask_b32_e32 v25, v57, v55, vcc
	v_cndmask_b32_e64 v10, v10, v25, s[16:17]
	v_cndmask_b32_e64 v15, v15, v27, s[18:19]
	;; [unrolled: 1-line block ×3, first 2 shown]
	v_sub_u32_e32 v30, 32, v5
	v_alignbit_b32 v32, v15, v27, v30
	v_cmp_eq_u32_e64 s[20:21], 0, v5
	v_cndmask_b32_e64 v5, v32, v15, s[20:21]
	v_cndmask_b32_e32 v15, v56, v39, vcc
	v_cndmask_b32_e64 v25, v25, v15, s[16:17]
	v_cndmask_b32_e64 v10, v10, v25, s[18:19]
	v_alignbit_b32 v32, v27, v10, v30
	v_cndmask_b32_e64 v27, v32, v27, s[20:21]
	v_bfe_u32 v39, v5, 29, 1
	v_cndmask_b32_e64 v4, v15, v4, s[16:17]
	v_alignbit_b32 v32, v5, v27, 30
	v_sub_u32_e32 v40, 0, v39
	v_cndmask_b32_e64 v4, v25, v4, s[18:19]
	v_xor_b32_e32 v32, v32, v40
	v_alignbit_b32 v15, v10, v4, v30
	v_cndmask_b32_e64 v10, v15, v10, s[20:21]
	v_ffbh_u32_e32 v25, v32
	v_alignbit_b32 v15, v27, v10, 30
	v_min_u32_e32 v25, 32, v25
	v_alignbit_b32 v4, v10, v4, 30
	v_xor_b32_e32 v15, v15, v40
	v_sub_u32_e32 v27, 31, v25
	v_xor_b32_e32 v4, v4, v40
	v_alignbit_b32 v30, v32, v15, v27
	v_alignbit_b32 v4, v15, v4, v27
	;; [unrolled: 1-line block ×3, first 2 shown]
	v_ffbh_u32_e32 v15, v10
	v_min_u32_e32 v15, 32, v15
	v_lshrrev_b32_e32 v35, 29, v5
	v_not_b32_e32 v27, v15
	v_alignbit_b32 v4, v10, v4, v27
	v_lshlrev_b32_e32 v10, 31, v35
	v_or_b32_e32 v27, 0x33000000, v10
	v_add_lshl_u32 v15, v15, v25, 23
	v_lshrrev_b32_e32 v4, 9, v4
	v_sub_u32_e32 v15, v27, v15
	v_or_b32_e32 v10, 0.5, v10
	v_lshlrev_b32_e32 v25, 23, v25
	v_or_b32_e32 v4, v15, v4
	v_lshrrev_b32_e32 v15, 9, v30
	v_sub_u32_e32 v10, v10, v25
	v_or_b32_e32 v10, v15, v10
	v_mul_f32_e32 v15, 0x3fc90fda, v10
	v_fma_f32 v25, v10, s70, -v15
	v_fmac_f32_e32 v25, 0x33a22168, v10
	v_fmac_f32_e32 v25, 0x3fc90fda, v4
	v_lshrrev_b32_e32 v4, 30, v5
	v_mov_b32_e32 v62, v19
	v_add_f32_e32 v10, v15, v25
	v_add_u32_e32 v15, v39, v4
.LBB1_79:                               ;   in Loop: Header=BB1_29 Depth=1
	s_andn2_saveexec_b64 s[16:17], s[40:41]
; %bb.80:                               ;   in Loop: Header=BB1_29 Depth=1
	v_mul_f32_e64 v4, |v0|, s71
	v_rndne_f32_e32 v4, v4
	v_cvt_i32_f32_e32 v15, v4
	v_fma_f32 v10, v4, s72, |v0|
	v_fmac_f32_e32 v10, 0xb3a22168, v4
	v_fmac_f32_e32 v10, 0xa7c234c4, v4
; %bb.81:                               ;   in Loop: Header=BB1_29 Depth=1
	s_or_b64 exec, exec, s[16:17]
	v_mul_f32_e32 v5, v10, v10
	v_mov_b32_e32 v25, 0xbf039337
	v_fmac_f32_e32 v25, 0x3c971480, v5
	v_mov_b32_e32 v27, 0x3f93f425
	v_fma_f32 v25, v5, v25, v27
	v_rcp_f32_e32 v25, v25
	v_and_b32_e32 v4, 1, v15
	v_mov_b32_e32 v15, 0x3ec54587
	v_fmac_f32_e32 v15, 0xbc8cedd3, v5
	v_mul_f32_e32 v15, v15, v25
	v_mul_f32_e32 v5, v5, v15
	v_fma_f32 v15, v5, v10, v10
	v_sub_f32_e32 v25, v15, v10
	v_fma_f32 v5, v5, v10, -v25
	v_rcp_f32_e32 v10, v15
	v_cmp_eq_u32_e32 vcc, 0, v4
	v_xor_b32_e32 v1, v1, v0
	v_fma_f32 v25, v15, -v10, 1.0
	v_fma_f32 v5, v5, -v10, v25
	v_fma_f32 v5, v5, -v10, -v10
	v_cndmask_b32_e32 v4, v5, v15, vcc
	v_xor_b32_e32 v1, v1, v4
	v_cmp_class_f32_e64 vcc, v0, s73
	v_cndmask_b32_e32 v0, v50, v1, vcc
	v_mul_f32_e32 v0, v14, v0
	v_mul_f32_e32 v25, v24, v24
	v_div_scale_f32 v1, s[16:17], v25, v25, v0
	v_rcp_f32_e32 v4, v1
	v_fma_f32 v5, -v1, v4, 1.0
	v_fmac_f32_e32 v4, v5, v4
	v_div_scale_f32 v5, vcc, v0, v25, v0
	v_mul_f32_e32 v10, v5, v4
	v_fma_f32 v15, -v1, v10, v5
	v_fmac_f32_e32 v10, v15, v4
	v_fma_f32 v1, -v1, v10, v5
	v_div_fmas_f32 v1, v1, v4, v10
	v_div_fixup_f32 v0, v1, v25, v0
	buffer_load_dword v1, off, s[84:87], 0 offset:272 ; 4-byte Folded Reload
	s_waitcnt vmcnt(0)
	v_mul_f32_e32 v15, v1, v0
	buffer_load_dword v1, off, s[84:87], 0 offset:8 ; 4-byte Folded Reload
	s_waitcnt vmcnt(0)
	v_mul_f32_e32 v25, v1, v0
.LBB1_82:                               ;   in Loop: Header=BB1_29 Depth=1
	s_or_b64 exec, exec, s[34:35]
.LBB1_83:                               ;   in Loop: Header=BB1_29 Depth=1
	s_or_b64 exec, exec, s[30:31]
                                        ; implicit-def: $vgpr0
.LBB1_84:                               ;   in Loop: Header=BB1_29 Depth=1
	s_andn2_saveexec_b64 s[28:29], s[28:29]
	s_cbranch_execz .LBB1_116
; %bb.85:                               ;   in Loop: Header=BB1_29 Depth=1
	v_cmp_lt_i32_e32 vcc, 41, v0
	s_and_saveexec_b64 s[16:17], vcc
	s_xor_b64 s[16:17], exec, s[16:17]
	s_cbranch_execz .LBB1_91
; %bb.86:                               ;   in Loop: Header=BB1_29 Depth=1
	v_cmp_lt_i32_e32 vcc, 42, v0
                                        ; implicit-def: $vgpr25
                                        ; implicit-def: $vgpr15
	s_and_saveexec_b64 s[18:19], vcc
	s_xor_b64 s[18:19], exec, s[18:19]
	s_cbranch_execz .LBB1_88
; %bb.87:                               ;   in Loop: Header=BB1_29 Depth=1
	buffer_load_dword v0, off, s[84:87], 0  ; 4-byte Folded Reload
	buffer_load_dword v1, off, s[84:87], 0 offset:4 ; 4-byte Folded Reload
	s_waitcnt vmcnt(0)
	global_load_dword v0, v[0:1], off
	s_nop 0
	buffer_load_dword v4, off, s[84:87], 0 offset:224 ; 4-byte Folded Reload
	buffer_load_dword v5, off, s[84:87], 0 offset:228 ; 4-byte Folded Reload
	s_waitcnt vmcnt(2)
	v_add_f32_e32 v15, -0.5, v0
	s_waitcnt vmcnt(0)
	global_load_dword v1, v[4:5], off
	s_waitcnt vmcnt(0)
	v_add_f32_e32 v25, -0.5, v1
.LBB1_88:                               ;   in Loop: Header=BB1_29 Depth=1
	s_andn2_saveexec_b64 s[18:19], s[18:19]
	s_cbranch_execz .LBB1_90
; %bb.89:                               ;   in Loop: Header=BB1_29 Depth=1
	buffer_load_dword v25, off, s[84:87], 0 offset:268 ; 4-byte Folded Reload
	buffer_load_dword v15, off, s[84:87], 0 offset:264 ; 4-byte Folded Reload
.LBB1_90:                               ;   in Loop: Header=BB1_29 Depth=1
	s_or_b64 exec, exec, s[18:19]
                                        ; implicit-def: $vgpr0
.LBB1_91:                               ;   in Loop: Header=BB1_29 Depth=1
	s_andn2_saveexec_b64 s[30:31], s[16:17]
	s_cbranch_execz .LBB1_115
; %bb.92:                               ;   in Loop: Header=BB1_29 Depth=1
	v_cmp_lt_i32_e32 vcc, 40, v0
	s_and_saveexec_b64 s[16:17], vcc
	s_xor_b64 s[34:35], exec, s[16:17]
	s_cbranch_execz .LBB1_102
; %bb.93:                               ;   in Loop: Header=BB1_29 Depth=1
	buffer_load_dword v0, off, s[84:87], 0  ; 4-byte Folded Reload
	buffer_load_dword v1, off, s[84:87], 0 offset:4 ; 4-byte Folded Reload
                                        ; implicit-def: $vgpr15
                                        ; implicit-def: $vgpr27
	s_waitcnt vmcnt(0)
	global_load_dword v0, v[0:1], off
	s_waitcnt vmcnt(0)
	v_mul_f32_e32 v0, 0x40490fdb, v0
	v_mul_f32_e32 v0, v14, v0
	v_and_b32_e32 v1, 0x7fffffff, v0
	v_lshrrev_b32_e32 v4, 23, v1
	v_and_b32_e32 v5, 0x7fffff, v1
	v_cmp_nlt_f32_e64 s[40:41], |v0|, s33
	v_add_u32_e32 v30, 0xffffff88, v4
	v_or_b32_e32 v25, 0x800000, v5
	s_and_saveexec_b64 s[16:17], s[40:41]
	s_xor_b64 s[42:43], exec, s[16:17]
	s_cbranch_execz .LBB1_95
; %bb.94:                               ;   in Loop: Header=BB1_29 Depth=1
	v_mad_u64_u32 v[4:5], s[16:17], v25, s63, 0
	v_cmp_lt_u32_e32 vcc, 63, v30
	v_mov_b32_e32 v10, v5
	v_mad_u64_u32 v[39:40], s[16:17], v25, s64, v[10:11]
	v_cndmask_b32_e32 v5, 0, v60, vcc
	v_add_u32_e32 v5, v5, v30
	v_mov_b32_e32 v10, v40
	v_mad_u64_u32 v[55:56], s[16:17], v25, s65, v[10:11]
	v_mov_b32_e32 v10, v56
	v_mad_u64_u32 v[56:57], s[16:17], v25, s66, v[10:11]
	v_cndmask_b32_e32 v4, v55, v4, vcc
	v_mov_b32_e32 v10, v57
	v_mad_u64_u32 v[57:58], s[16:17], v25, s67, v[10:11]
	v_cmp_lt_u32_e64 s[16:17], 31, v5
	v_cndmask_b32_e64 v10, 0, v63, s[16:17]
	v_add_u32_e32 v5, v10, v5
	v_mov_b32_e32 v10, v58
	v_mad_u64_u32 v[58:59], s[18:19], v25, s68, v[10:11]
	v_cmp_lt_u32_e64 s[18:19], 31, v5
	v_cndmask_b32_e64 v10, 0, v63, s[18:19]
	v_add_u32_e32 v5, v10, v5
	v_mov_b32_e32 v10, v59
	v_mad_u64_u32 v[61:62], s[20:21], v25, s69, v[10:11]
	v_cndmask_b32_e32 v10, v57, v55, vcc
	v_cndmask_b32_e32 v15, v58, v56, vcc
	;; [unrolled: 1-line block ×4, first 2 shown]
	v_cndmask_b32_e64 v27, v15, v10, s[16:17]
	v_cndmask_b32_e64 v15, v32, v15, s[16:17]
	;; [unrolled: 1-line block ×5, first 2 shown]
	v_sub_u32_e32 v35, 32, v5
	v_alignbit_b32 v40, v32, v15, v35
	v_cmp_eq_u32_e64 s[20:21], 0, v5
	v_cndmask_b32_e64 v5, v40, v32, s[20:21]
	v_cndmask_b32_e32 v32, v56, v39, vcc
	v_cndmask_b32_e64 v10, v10, v32, s[16:17]
	v_cndmask_b32_e64 v27, v27, v10, s[18:19]
	v_alignbit_b32 v39, v15, v27, v35
	v_cndmask_b32_e64 v15, v39, v15, s[20:21]
	v_bfe_u32 v44, v5, 29, 1
	v_cndmask_b32_e64 v4, v32, v4, s[16:17]
	v_alignbit_b32 v39, v5, v15, 30
	v_sub_u32_e32 v46, 0, v44
	v_cndmask_b32_e64 v4, v10, v4, s[18:19]
	v_xor_b32_e32 v39, v39, v46
	v_alignbit_b32 v10, v27, v4, v35
	v_cndmask_b32_e64 v10, v10, v27, s[20:21]
	v_ffbh_u32_e32 v27, v39
	v_alignbit_b32 v15, v15, v10, 30
	v_min_u32_e32 v27, 32, v27
	v_alignbit_b32 v4, v10, v4, 30
	v_xor_b32_e32 v15, v15, v46
	v_sub_u32_e32 v32, 31, v27
	v_xor_b32_e32 v4, v4, v46
	v_alignbit_b32 v35, v39, v15, v32
	v_alignbit_b32 v4, v15, v4, v32
	v_alignbit_b32 v10, v35, v4, 9
	v_ffbh_u32_e32 v15, v10
	v_min_u32_e32 v15, 32, v15
	v_lshrrev_b32_e32 v40, 29, v5
	v_not_b32_e32 v32, v15
	v_alignbit_b32 v4, v10, v4, v32
	v_lshlrev_b32_e32 v10, 31, v40
	v_or_b32_e32 v32, 0x33000000, v10
	v_add_lshl_u32 v15, v15, v27, 23
	v_lshrrev_b32_e32 v4, 9, v4
	v_sub_u32_e32 v15, v32, v15
	v_or_b32_e32 v10, 0.5, v10
	v_lshlrev_b32_e32 v27, 23, v27
	v_or_b32_e32 v4, v15, v4
	v_lshrrev_b32_e32 v15, 9, v35
	v_sub_u32_e32 v10, v10, v27
	v_or_b32_e32 v10, v15, v10
	v_mul_f32_e32 v15, 0x3fc90fda, v10
	v_fma_f32 v27, v10, s70, -v15
	v_fmac_f32_e32 v27, 0x33a22168, v10
	v_fmac_f32_e32 v27, 0x3fc90fda, v4
	v_lshrrev_b32_e32 v4, 30, v5
	v_mov_b32_e32 v62, v19
	v_add_f32_e32 v27, v15, v27
	v_add_u32_e32 v15, v44, v4
.LBB1_95:                               ;   in Loop: Header=BB1_29 Depth=1
	s_or_saveexec_b64 s[16:17], s[42:43]
	v_mul_f32_e64 v4, |v0|, s71
	v_rndne_f32_e32 v35, v4
	s_xor_b64 exec, exec, s[16:17]
; %bb.96:                               ;   in Loop: Header=BB1_29 Depth=1
	v_cvt_i32_f32_e32 v15, v35
	v_fma_f32 v27, v35, s72, |v0|
	v_fmac_f32_e32 v27, 0xb3a22168, v35
	v_fmac_f32_e32 v27, 0xa7c234c4, v35
; %bb.97:                               ;   in Loop: Header=BB1_29 Depth=1
	s_or_b64 exec, exec, s[16:17]
                                        ; implicit-def: $vgpr10
                                        ; implicit-def: $vgpr32
	s_and_saveexec_b64 s[16:17], s[40:41]
	s_xor_b64 s[40:41], exec, s[16:17]
	s_cbranch_execz .LBB1_99
; %bb.98:                               ;   in Loop: Header=BB1_29 Depth=1
	v_mad_u64_u32 v[4:5], s[16:17], v25, s63, 0
	v_cmp_lt_u32_e32 vcc, 63, v30
	v_mov_b32_e32 v10, v5
	v_mad_u64_u32 v[39:40], s[16:17], v25, s64, v[10:11]
	v_cndmask_b32_e32 v5, 0, v60, vcc
	v_add_u32_e32 v5, v5, v30
	v_mov_b32_e32 v10, v40
	v_mad_u64_u32 v[55:56], s[16:17], v25, s65, v[10:11]
	v_mov_b32_e32 v10, v56
	v_mad_u64_u32 v[56:57], s[16:17], v25, s66, v[10:11]
	v_cndmask_b32_e32 v4, v55, v4, vcc
	v_mov_b32_e32 v10, v57
	v_mad_u64_u32 v[57:58], s[16:17], v25, s67, v[10:11]
	v_cmp_lt_u32_e64 s[16:17], 31, v5
	v_cndmask_b32_e64 v10, 0, v63, s[16:17]
	v_add_u32_e32 v5, v10, v5
	v_mov_b32_e32 v10, v58
	v_mad_u64_u32 v[58:59], s[18:19], v25, s68, v[10:11]
	v_cmp_lt_u32_e64 s[18:19], 31, v5
	v_cndmask_b32_e64 v10, 0, v63, s[18:19]
	v_add_u32_e32 v5, v10, v5
	v_mov_b32_e32 v10, v59
	v_mad_u64_u32 v[61:62], s[20:21], v25, s69, v[10:11]
	v_cndmask_b32_e32 v10, v57, v55, vcc
	v_cndmask_b32_e32 v25, v58, v56, vcc
	;; [unrolled: 1-line block ×4, first 2 shown]
	v_cndmask_b32_e64 v30, v25, v10, s[16:17]
	v_cndmask_b32_e64 v25, v32, v25, s[16:17]
	;; [unrolled: 1-line block ×5, first 2 shown]
	v_sub_u32_e32 v35, 32, v5
	v_alignbit_b32 v40, v32, v25, v35
	v_cmp_eq_u32_e64 s[20:21], 0, v5
	v_cndmask_b32_e64 v5, v40, v32, s[20:21]
	v_cndmask_b32_e32 v32, v56, v39, vcc
	v_cndmask_b32_e64 v10, v10, v32, s[16:17]
	v_cndmask_b32_e64 v30, v30, v10, s[18:19]
	v_alignbit_b32 v39, v25, v30, v35
	v_cndmask_b32_e64 v25, v39, v25, s[20:21]
	v_bfe_u32 v44, v5, 29, 1
	v_cndmask_b32_e64 v4, v32, v4, s[16:17]
	v_alignbit_b32 v39, v5, v25, 30
	v_sub_u32_e32 v46, 0, v44
	v_cndmask_b32_e64 v4, v10, v4, s[18:19]
	v_xor_b32_e32 v39, v39, v46
	v_alignbit_b32 v10, v30, v4, v35
	v_cndmask_b32_e64 v10, v10, v30, s[20:21]
	v_ffbh_u32_e32 v30, v39
	v_alignbit_b32 v25, v25, v10, 30
	v_min_u32_e32 v30, 32, v30
	v_alignbit_b32 v4, v10, v4, 30
	v_xor_b32_e32 v25, v25, v46
	v_sub_u32_e32 v32, 31, v30
	v_xor_b32_e32 v4, v4, v46
	v_alignbit_b32 v35, v39, v25, v32
	v_alignbit_b32 v4, v25, v4, v32
	;; [unrolled: 1-line block ×3, first 2 shown]
	v_ffbh_u32_e32 v25, v10
	v_min_u32_e32 v25, 32, v25
	v_lshrrev_b32_e32 v40, 29, v5
	v_not_b32_e32 v32, v25
	v_alignbit_b32 v4, v10, v4, v32
	v_lshlrev_b32_e32 v10, 31, v40
	v_or_b32_e32 v32, 0x33000000, v10
	v_add_lshl_u32 v25, v25, v30, 23
	v_lshrrev_b32_e32 v4, 9, v4
	v_sub_u32_e32 v25, v32, v25
	v_or_b32_e32 v10, 0.5, v10
	v_lshlrev_b32_e32 v30, 23, v30
	v_or_b32_e32 v4, v25, v4
	v_lshrrev_b32_e32 v25, 9, v35
	v_sub_u32_e32 v10, v10, v30
	v_or_b32_e32 v10, v25, v10
	v_mul_f32_e32 v25, 0x3fc90fda, v10
	v_fma_f32 v30, v10, s70, -v25
	v_fmac_f32_e32 v30, 0x33a22168, v10
	v_fmac_f32_e32 v30, 0x3fc90fda, v4
	v_lshrrev_b32_e32 v4, 30, v5
	v_mov_b32_e32 v62, v19
	v_add_f32_e32 v32, v25, v30
	v_add_u32_e32 v10, v44, v4
                                        ; implicit-def: $vgpr35
	s_andn2_saveexec_b64 s[16:17], s[40:41]
	s_cbranch_execnz .LBB1_100
	s_branch .LBB1_101
.LBB1_99:                               ;   in Loop: Header=BB1_29 Depth=1
	s_andn2_saveexec_b64 s[16:17], s[40:41]
.LBB1_100:                              ;   in Loop: Header=BB1_29 Depth=1
	v_cvt_i32_f32_e32 v10, v35
	v_fma_f32 v32, v35, s72, |v0|
	v_fmac_f32_e32 v32, 0xb3a22168, v35
	v_fmac_f32_e32 v32, 0xa7c234c4, v35
.LBB1_101:                              ;   in Loop: Header=BB1_29 Depth=1
	s_or_b64 exec, exec, s[16:17]
	v_mul_f32_e32 v4, v27, v27
	v_mov_b32_e32 v5, 0x3c0881c4
	v_fmac_f32_e32 v5, 0xb94c1982, v4
	v_mov_b32_e32 v25, 0xbe2aaa9d
	v_fma_f32 v5, v4, v5, v25
	v_mul_f32_e32 v5, v4, v5
	v_fmac_f32_e32 v27, v27, v5
	v_mov_b32_e32 v5, 0xbab64f3b
	v_fmac_f32_e32 v5, 0x37d75334, v4
	v_mov_b32_e32 v30, 0x3d2aabf7
	v_fma_f32 v5, v4, v5, v30
	v_fma_f32 v5, v4, v5, v51
	v_fma_f32 v4, v4, v5, 1.0
	v_and_b32_e32 v5, 1, v15
	v_cmp_eq_u32_e32 vcc, 0, v5
	v_lshlrev_b32_e32 v5, 30, v15
	v_and_b32_e32 v5, 0x80000000, v5
	v_xor_b32_e32 v1, v1, v0
	v_cndmask_b32_e32 v4, v4, v27, vcc
	v_xor_b32_e32 v1, v1, v5
	v_xor_b32_e32 v1, v1, v4
	v_cmp_class_f32_e64 vcc, v0, s73
	v_cndmask_b32_e32 v15, v50, v1, vcc
	v_mul_f32_e32 v1, v32, v32
	v_mov_b32_e32 v4, 0x3c0881c4
	v_fmac_f32_e32 v4, 0xb94c1982, v1
	v_fma_f32 v4, v1, v4, v25
	v_mul_f32_e32 v4, v1, v4
	v_fmac_f32_e32 v32, v32, v4
	v_mov_b32_e32 v4, 0xbab64f3b
	v_fmac_f32_e32 v4, 0x37d75334, v1
	v_fma_f32 v4, v1, v4, v30
	v_fma_f32 v4, v1, v4, v51
	v_fma_f32 v1, v1, v4, 1.0
	v_and_b32_e32 v4, 1, v10
	v_cmp_eq_u32_e64 s[16:17], 0, v4
	v_lshlrev_b32_e32 v4, 30, v10
	v_cndmask_b32_e64 v1, -v32, v1, s[16:17]
	v_and_b32_e32 v4, 0x80000000, v4
	v_xor_b32_e32 v1, v4, v1
	v_mul_f32_e32 v0, v15, v15
	v_cndmask_b32_e32 v1, v50, v1, vcc
	v_div_scale_f32 v4, s[16:17], v1, v1, v0
	v_div_scale_f32 v5, vcc, v0, v1, v0
	v_mov_b32_e32 v31, 0xbe2aaa9d
	v_mov_b32_e32 v26, 0x3d2aabf7
	v_rcp_f32_e32 v10, v4
	v_fma_f32 v25, -v4, v10, 1.0
	v_fmac_f32_e32 v10, v25, v10
	v_mul_f32_e32 v25, v5, v10
	v_fma_f32 v27, -v4, v25, v5
	v_fmac_f32_e32 v25, v27, v10
	v_fma_f32 v4, -v4, v25, v5
	v_div_fmas_f32 v4, v4, v10, v25
	v_div_fixup_f32 v25, v4, v1, v0
                                        ; implicit-def: $vgpr0
.LBB1_102:                              ;   in Loop: Header=BB1_29 Depth=1
	s_andn2_saveexec_b64 s[34:35], s[34:35]
	s_cbranch_execz .LBB1_114
; %bb.103:                              ;   in Loop: Header=BB1_29 Depth=1
	v_cmp_eq_u32_e32 vcc, 34, v0
	s_and_saveexec_b64 s[40:41], vcc
	s_cbranch_execz .LBB1_113
; %bb.104:                              ;   in Loop: Header=BB1_29 Depth=1
	buffer_load_dword v0, off, s[84:87], 0  ; 4-byte Folded Reload
	buffer_load_dword v1, off, s[84:87], 0 offset:4 ; 4-byte Folded Reload
                                        ; implicit-def: $vgpr15
                                        ; implicit-def: $vgpr27
	s_waitcnt vmcnt(0)
	global_load_dword v1, v[0:1], off
	s_nop 0
	buffer_load_dword v4, off, s[84:87], 0 offset:224 ; 4-byte Folded Reload
	buffer_load_dword v5, off, s[84:87], 0 offset:228 ; 4-byte Folded Reload
	s_waitcnt vmcnt(2)
	v_add_f32_e32 v1, v1, v1
	s_waitcnt vmcnt(0)
	global_load_dword v0, v[4:5], off
	v_mul_f32_e32 v1, 0x40490fdb, v1
	v_and_b32_e32 v25, 0x7fffffff, v1
	v_lshrrev_b32_e32 v4, 23, v25
	v_and_b32_e32 v5, 0x7fffff, v25
	v_cmp_nlt_f32_e64 s[42:43], |v1|, s33
	v_add_u32_e32 v32, 0xffffff88, v4
	v_or_b32_e32 v30, 0x800000, v5
	s_and_saveexec_b64 s[16:17], s[42:43]
	s_xor_b64 s[44:45], exec, s[16:17]
	s_cbranch_execz .LBB1_106
; %bb.105:                              ;   in Loop: Header=BB1_29 Depth=1
	v_mad_u64_u32 v[4:5], s[16:17], v30, s63, 0
	v_cmp_lt_u32_e32 vcc, 63, v32
	v_mov_b32_e32 v10, v5
	v_mad_u64_u32 v[39:40], s[16:17], v30, s64, v[10:11]
	v_cndmask_b32_e32 v5, 0, v60, vcc
	v_add_u32_e32 v5, v5, v32
	v_mov_b32_e32 v10, v40
	v_mad_u64_u32 v[55:56], s[16:17], v30, s65, v[10:11]
	v_mov_b32_e32 v10, v56
	v_mad_u64_u32 v[56:57], s[16:17], v30, s66, v[10:11]
	v_cndmask_b32_e32 v4, v55, v4, vcc
	v_mov_b32_e32 v10, v57
	v_mad_u64_u32 v[57:58], s[16:17], v30, s67, v[10:11]
	v_cmp_lt_u32_e64 s[16:17], 31, v5
	v_cndmask_b32_e64 v10, 0, v63, s[16:17]
	v_add_u32_e32 v5, v10, v5
	v_mov_b32_e32 v10, v58
	v_mad_u64_u32 v[58:59], s[18:19], v30, s68, v[10:11]
	v_cmp_lt_u32_e64 s[18:19], 31, v5
	v_cndmask_b32_e64 v10, 0, v63, s[18:19]
	v_add_u32_e32 v5, v10, v5
	v_mov_b32_e32 v10, v59
	v_mad_u64_u32 v[61:62], s[20:21], v30, s69, v[10:11]
	v_cndmask_b32_e32 v10, v57, v55, vcc
	v_cndmask_b32_e32 v15, v58, v56, vcc
	;; [unrolled: 1-line block ×4, first 2 shown]
	v_cndmask_b32_e64 v27, v15, v10, s[16:17]
	v_cndmask_b32_e64 v15, v35, v15, s[16:17]
	;; [unrolled: 1-line block ×5, first 2 shown]
	v_sub_u32_e32 v40, 32, v5
	v_alignbit_b32 v44, v35, v15, v40
	v_cmp_eq_u32_e64 s[20:21], 0, v5
	v_cndmask_b32_e64 v5, v44, v35, s[20:21]
	v_cndmask_b32_e32 v35, v56, v39, vcc
	v_cndmask_b32_e64 v10, v10, v35, s[16:17]
	v_cndmask_b32_e64 v27, v27, v10, s[18:19]
	v_alignbit_b32 v39, v15, v27, v40
	v_cndmask_b32_e64 v15, v39, v15, s[20:21]
	v_bfe_u32 v46, v5, 29, 1
	v_cndmask_b32_e64 v4, v35, v4, s[16:17]
	v_alignbit_b32 v39, v5, v15, 30
	v_sub_u32_e32 v56, 0, v46
	v_cndmask_b32_e64 v4, v10, v4, s[18:19]
	v_xor_b32_e32 v39, v39, v56
	v_alignbit_b32 v10, v27, v4, v40
	v_cndmask_b32_e64 v10, v10, v27, s[20:21]
	v_ffbh_u32_e32 v27, v39
	v_alignbit_b32 v15, v15, v10, 30
	v_min_u32_e32 v27, 32, v27
	v_alignbit_b32 v4, v10, v4, 30
	v_xor_b32_e32 v15, v15, v56
	v_sub_u32_e32 v35, 31, v27
	v_xor_b32_e32 v4, v4, v56
	v_alignbit_b32 v39, v39, v15, v35
	v_alignbit_b32 v4, v15, v4, v35
	;; [unrolled: 1-line block ×3, first 2 shown]
	v_ffbh_u32_e32 v15, v10
	v_min_u32_e32 v15, 32, v15
	v_lshrrev_b32_e32 v44, 29, v5
	v_not_b32_e32 v35, v15
	v_alignbit_b32 v4, v10, v4, v35
	v_lshlrev_b32_e32 v10, 31, v44
	v_or_b32_e32 v35, 0x33000000, v10
	v_add_lshl_u32 v15, v15, v27, 23
	v_lshrrev_b32_e32 v4, 9, v4
	v_sub_u32_e32 v15, v35, v15
	v_or_b32_e32 v10, 0.5, v10
	v_lshlrev_b32_e32 v27, 23, v27
	v_or_b32_e32 v4, v15, v4
	v_lshrrev_b32_e32 v15, 9, v39
	v_sub_u32_e32 v10, v10, v27
	v_or_b32_e32 v10, v15, v10
	v_mul_f32_e32 v15, 0x3fc90fda, v10
	v_fma_f32 v27, v10, s70, -v15
	v_fmac_f32_e32 v27, 0x33a22168, v10
	v_fmac_f32_e32 v27, 0x3fc90fda, v4
	v_lshrrev_b32_e32 v4, 30, v5
	v_mov_b32_e32 v62, v19
	v_add_f32_e32 v27, v15, v27
	v_add_u32_e32 v15, v46, v4
.LBB1_106:                              ;   in Loop: Header=BB1_29 Depth=1
	s_or_saveexec_b64 s[16:17], s[44:45]
	v_mul_f32_e64 v4, |v1|, s71
	v_rndne_f32_e32 v39, v4
	s_xor_b64 exec, exec, s[16:17]
; %bb.107:                              ;   in Loop: Header=BB1_29 Depth=1
	v_cvt_i32_f32_e32 v15, v39
	v_fma_f32 v27, v39, s72, |v1|
	v_fmac_f32_e32 v27, 0xb3a22168, v39
	v_fmac_f32_e32 v27, 0xa7c234c4, v39
; %bb.108:                              ;   in Loop: Header=BB1_29 Depth=1
	s_or_b64 exec, exec, s[16:17]
                                        ; implicit-def: $vgpr10
                                        ; implicit-def: $vgpr35
	s_and_saveexec_b64 s[16:17], s[42:43]
	s_xor_b64 s[42:43], exec, s[16:17]
	s_cbranch_execz .LBB1_110
; %bb.109:                              ;   in Loop: Header=BB1_29 Depth=1
	v_mad_u64_u32 v[4:5], s[16:17], v30, s63, 0
	v_cmp_lt_u32_e32 vcc, 63, v32
	v_mov_b32_e32 v10, v5
	v_mad_u64_u32 v[39:40], s[16:17], v30, s64, v[10:11]
	v_cndmask_b32_e32 v5, 0, v60, vcc
	v_add_u32_e32 v5, v5, v32
	v_mov_b32_e32 v10, v40
	v_mad_u64_u32 v[55:56], s[16:17], v30, s65, v[10:11]
	v_mov_b32_e32 v10, v56
	v_mad_u64_u32 v[56:57], s[16:17], v30, s66, v[10:11]
	v_cndmask_b32_e32 v4, v55, v4, vcc
	v_mov_b32_e32 v10, v57
	v_mad_u64_u32 v[57:58], s[16:17], v30, s67, v[10:11]
	v_cmp_lt_u32_e64 s[16:17], 31, v5
	v_cndmask_b32_e64 v10, 0, v63, s[16:17]
	v_add_u32_e32 v5, v10, v5
	v_mov_b32_e32 v10, v58
	v_mad_u64_u32 v[58:59], s[18:19], v30, s68, v[10:11]
	v_cmp_lt_u32_e64 s[18:19], 31, v5
	v_cndmask_b32_e64 v10, 0, v63, s[18:19]
	v_add_u32_e32 v5, v10, v5
	v_mov_b32_e32 v10, v59
	v_mad_u64_u32 v[61:62], s[20:21], v30, s69, v[10:11]
	v_cndmask_b32_e32 v10, v57, v55, vcc
	v_cndmask_b32_e32 v30, v58, v56, vcc
	v_cndmask_b32_e32 v35, v61, v57, vcc
	v_cndmask_b32_e32 v40, v62, v58, vcc
	v_cndmask_b32_e64 v32, v30, v10, s[16:17]
	v_cndmask_b32_e64 v30, v35, v30, s[16:17]
	;; [unrolled: 1-line block ×5, first 2 shown]
	v_sub_u32_e32 v40, 32, v5
	v_alignbit_b32 v44, v35, v30, v40
	v_cmp_eq_u32_e64 s[20:21], 0, v5
	v_cndmask_b32_e64 v5, v44, v35, s[20:21]
	v_cndmask_b32_e32 v35, v56, v39, vcc
	v_cndmask_b32_e64 v10, v10, v35, s[16:17]
	v_cndmask_b32_e64 v32, v32, v10, s[18:19]
	v_alignbit_b32 v39, v30, v32, v40
	v_cndmask_b32_e64 v30, v39, v30, s[20:21]
	v_bfe_u32 v46, v5, 29, 1
	v_cndmask_b32_e64 v4, v35, v4, s[16:17]
	v_alignbit_b32 v39, v5, v30, 30
	v_sub_u32_e32 v56, 0, v46
	v_cndmask_b32_e64 v4, v10, v4, s[18:19]
	v_xor_b32_e32 v39, v39, v56
	v_alignbit_b32 v10, v32, v4, v40
	v_cndmask_b32_e64 v10, v10, v32, s[20:21]
	v_ffbh_u32_e32 v32, v39
	v_alignbit_b32 v30, v30, v10, 30
	v_min_u32_e32 v32, 32, v32
	v_alignbit_b32 v4, v10, v4, 30
	v_xor_b32_e32 v30, v30, v56
	v_sub_u32_e32 v35, 31, v32
	v_xor_b32_e32 v4, v4, v56
	v_alignbit_b32 v39, v39, v30, v35
	v_alignbit_b32 v4, v30, v4, v35
	v_alignbit_b32 v10, v39, v4, 9
	v_ffbh_u32_e32 v30, v10
	v_min_u32_e32 v30, 32, v30
	v_lshrrev_b32_e32 v44, 29, v5
	v_not_b32_e32 v35, v30
	v_alignbit_b32 v4, v10, v4, v35
	v_lshlrev_b32_e32 v10, 31, v44
	v_or_b32_e32 v35, 0x33000000, v10
	v_add_lshl_u32 v30, v30, v32, 23
	v_lshrrev_b32_e32 v4, 9, v4
	v_sub_u32_e32 v30, v35, v30
	v_or_b32_e32 v10, 0.5, v10
	v_lshlrev_b32_e32 v32, 23, v32
	v_or_b32_e32 v4, v30, v4
	v_lshrrev_b32_e32 v30, 9, v39
	v_sub_u32_e32 v10, v10, v32
	v_or_b32_e32 v10, v30, v10
	v_mul_f32_e32 v30, 0x3fc90fda, v10
	v_fma_f32 v32, v10, s70, -v30
	v_fmac_f32_e32 v32, 0x33a22168, v10
	v_fmac_f32_e32 v32, 0x3fc90fda, v4
	v_lshrrev_b32_e32 v4, 30, v5
	v_mov_b32_e32 v62, v19
	v_add_f32_e32 v35, v30, v32
	v_add_u32_e32 v10, v46, v4
                                        ; implicit-def: $vgpr39
	s_andn2_saveexec_b64 s[16:17], s[42:43]
	s_cbranch_execnz .LBB1_111
	s_branch .LBB1_112
.LBB1_110:                              ;   in Loop: Header=BB1_29 Depth=1
	s_andn2_saveexec_b64 s[16:17], s[42:43]
.LBB1_111:                              ;   in Loop: Header=BB1_29 Depth=1
	v_cvt_i32_f32_e32 v10, v39
	v_fma_f32 v35, v39, s72, |v1|
	v_fmac_f32_e32 v35, 0xb3a22168, v39
	v_fmac_f32_e32 v35, 0xa7c234c4, v39
.LBB1_112:                              ;   in Loop: Header=BB1_29 Depth=1
	s_or_b64 exec, exec, s[16:17]
	v_mul_f32_e32 v4, v27, v27
	v_mov_b32_e32 v5, 0x3c0881c4
	v_fmac_f32_e32 v5, 0xb94c1982, v4
	v_mov_b32_e32 v26, 0xbe2aaa9d
	v_fma_f32 v5, v4, v5, v26
	v_mul_f32_e32 v5, v4, v5
	v_fmac_f32_e32 v27, v27, v5
	v_mov_b32_e32 v5, 0xbab64f3b
	v_fmac_f32_e32 v5, 0x37d75334, v4
	v_mov_b32_e32 v30, 0x3d2aabf7
	v_fma_f32 v5, v4, v5, v30
	v_fma_f32 v5, v4, v5, v51
	v_fma_f32 v4, v4, v5, 1.0
	v_and_b32_e32 v5, 1, v15
	v_cmp_eq_u32_e32 vcc, 0, v5
	v_lshlrev_b32_e32 v5, 30, v15
	v_cndmask_b32_e64 v4, -v27, v4, vcc
	v_and_b32_e32 v5, 0x80000000, v5
	v_xor_b32_e32 v4, v5, v4
	v_cmp_class_f32_e64 vcc, v1, s73
	v_cndmask_b32_e32 v4, v50, v4, vcc
	s_waitcnt vmcnt(0)
	v_mul_f32_e32 v15, v0, v4
	v_mul_f32_e32 v4, v35, v35
	v_mov_b32_e32 v5, 0x3c0881c4
	v_fmac_f32_e32 v5, 0xb94c1982, v4
	v_fma_f32 v5, v4, v5, v26
	v_mul_f32_e32 v5, v4, v5
	v_fmac_f32_e32 v35, v35, v5
	v_mov_b32_e32 v5, 0xbab64f3b
	v_fmac_f32_e32 v5, 0x37d75334, v4
	v_fma_f32 v5, v4, v5, v30
	v_fma_f32 v5, v4, v5, v51
	v_fma_f32 v4, v4, v5, 1.0
	v_and_b32_e32 v5, 1, v10
	v_cmp_eq_u32_e64 s[16:17], 0, v5
	v_lshlrev_b32_e32 v5, 30, v10
	v_and_b32_e32 v5, 0x80000000, v5
	v_xor_b32_e32 v1, v25, v1
	v_cndmask_b32_e64 v4, v4, v35, s[16:17]
	v_xor_b32_e32 v1, v1, v5
	v_xor_b32_e32 v1, v1, v4
	v_cndmask_b32_e32 v1, v50, v1, vcc
	v_mov_b32_e32 v31, 0xbe2aaa9d
	v_mov_b32_e32 v26, 0x3d2aabf7
	v_mul_f32_e32 v25, v0, v1
.LBB1_113:                              ;   in Loop: Header=BB1_29 Depth=1
	s_or_b64 exec, exec, s[40:41]
.LBB1_114:                              ;   in Loop: Header=BB1_29 Depth=1
	s_or_b64 exec, exec, s[34:35]
.LBB1_115:                              ;   in Loop: Header=BB1_29 Depth=1
	s_or_b64 exec, exec, s[30:31]
.LBB1_116:                              ;   in Loop: Header=BB1_29 Depth=1
	s_or_b64 exec, exec, s[28:29]
                                        ; implicit-def: $vgpr0
.LBB1_117:                              ;   in Loop: Header=BB1_29 Depth=1
	s_andn2_saveexec_b64 s[26:27], s[26:27]
	s_cbranch_execz .LBB1_175
; %bb.118:                              ;   in Loop: Header=BB1_29 Depth=1
	v_cmp_lt_i32_e32 vcc, 21, v0
	s_and_saveexec_b64 s[16:17], vcc
	s_xor_b64 s[28:29], exec, s[16:17]
	s_cbranch_execz .LBB1_156
; %bb.119:                              ;   in Loop: Header=BB1_29 Depth=1
	v_cmp_lt_i32_e32 vcc, 27, v0
	s_and_saveexec_b64 s[16:17], vcc
	s_xor_b64 s[30:31], exec, s[16:17]
	;; [unrolled: 5-line block ×4, first 2 shown]
	s_cbranch_execz .LBB1_133
; %bb.122:                              ;   in Loop: Header=BB1_29 Depth=1
	v_cmp_eq_u32_e32 vcc, 31, v0
	s_and_saveexec_b64 s[42:43], vcc
	s_cbranch_execz .LBB1_132
; %bb.123:                              ;   in Loop: Header=BB1_29 Depth=1
	buffer_load_dword v0, off, s[84:87], 0  ; 4-byte Folded Reload
	buffer_load_dword v1, off, s[84:87], 0 offset:4 ; 4-byte Folded Reload
                                        ; implicit-def: $vgpr30
                                        ; implicit-def: $vgpr32
	s_waitcnt vmcnt(0)
	global_load_dword v0, v[0:1], off
	s_nop 0
	buffer_load_dword v4, off, s[84:87], 0 offset:224 ; 4-byte Folded Reload
	buffer_load_dword v5, off, s[84:87], 0 offset:228 ; 4-byte Folded Reload
	s_waitcnt vmcnt(2)
	v_add_f32_e32 v0, v0, v0
	s_waitcnt vmcnt(0)
	global_load_dword v27, v[4:5], off
	v_mul_f32_e32 v0, 0x40490fdb, v0
	v_and_b32_e32 v1, 0x7fffffff, v0
	v_lshrrev_b32_e32 v4, 23, v1
	v_and_b32_e32 v5, 0x7fffff, v1
	v_cmp_nlt_f32_e64 s[44:45], |v0|, s33
	v_add_u32_e32 v39, 0xffffff88, v4
	v_or_b32_e32 v35, 0x800000, v5
	s_and_saveexec_b64 s[16:17], s[44:45]
	s_xor_b64 s[46:47], exec, s[16:17]
	s_cbranch_execz .LBB1_125
; %bb.124:                              ;   in Loop: Header=BB1_29 Depth=1
	v_mad_u64_u32 v[4:5], s[16:17], v35, s63, 0
	v_cmp_lt_u32_e32 vcc, 63, v39
	v_mov_b32_e32 v10, v5
	v_mad_u64_u32 v[55:56], s[16:17], v35, s64, v[10:11]
	v_cndmask_b32_e32 v5, 0, v60, vcc
	v_add_u32_e32 v5, v5, v39
	v_mov_b32_e32 v10, v56
	v_mad_u64_u32 v[56:57], s[16:17], v35, s65, v[10:11]
	v_mov_b32_e32 v10, v57
	v_mad_u64_u32 v[57:58], s[16:17], v35, s66, v[10:11]
	v_cndmask_b32_e32 v4, v56, v4, vcc
	v_mov_b32_e32 v10, v58
	v_mad_u64_u32 v[58:59], s[16:17], v35, s67, v[10:11]
	v_cmp_lt_u32_e64 s[16:17], 31, v5
	v_cndmask_b32_e64 v10, 0, v63, s[16:17]
	v_add_u32_e32 v5, v10, v5
	v_mov_b32_e32 v10, v59
	v_mad_u64_u32 v[61:62], s[18:19], v35, s68, v[10:11]
	v_cmp_lt_u32_e64 s[18:19], 31, v5
	v_cndmask_b32_e64 v10, 0, v63, s[18:19]
	v_add_u32_e32 v5, v10, v5
	v_mov_b32_e32 v10, v62
	v_mad_u64_u32 v[62:63], s[20:21], v35, s69, v[10:11]
	v_cndmask_b32_e32 v10, v58, v56, vcc
	v_cndmask_b32_e32 v30, v61, v57, vcc
	;; [unrolled: 1-line block ×4, first 2 shown]
	v_cndmask_b32_e64 v32, v30, v10, s[16:17]
	v_cndmask_b32_e64 v30, v40, v30, s[16:17]
	v_cndmask_b32_e64 v40, v44, v40, s[16:17]
	v_cndmask_b32_e64 v40, v40, v30, s[18:19]
	v_cndmask_b32_e64 v30, v30, v32, s[18:19]
	v_sub_u32_e32 v44, 32, v5
	v_alignbit_b32 v46, v40, v30, v44
	v_cmp_eq_u32_e64 s[20:21], 0, v5
	v_cndmask_b32_e64 v5, v46, v40, s[20:21]
	v_cndmask_b32_e32 v40, v57, v55, vcc
	v_cndmask_b32_e64 v10, v10, v40, s[16:17]
	v_cndmask_b32_e64 v32, v32, v10, s[18:19]
	v_alignbit_b32 v46, v30, v32, v44
	v_cndmask_b32_e64 v30, v46, v30, s[20:21]
	v_bfe_u32 v57, v5, 29, 1
	v_cndmask_b32_e64 v4, v40, v4, s[16:17]
	v_alignbit_b32 v46, v5, v30, 30
	v_sub_u32_e32 v58, 0, v57
	v_cndmask_b32_e64 v4, v10, v4, s[18:19]
	v_xor_b32_e32 v46, v46, v58
	v_alignbit_b32 v10, v32, v4, v44
	v_cndmask_b32_e64 v10, v10, v32, s[20:21]
	v_ffbh_u32_e32 v32, v46
	v_alignbit_b32 v30, v30, v10, 30
	v_min_u32_e32 v32, 32, v32
	v_alignbit_b32 v4, v10, v4, 30
	v_xor_b32_e32 v30, v30, v58
	v_sub_u32_e32 v40, 31, v32
	v_xor_b32_e32 v4, v4, v58
	v_alignbit_b32 v44, v46, v30, v40
	v_alignbit_b32 v4, v30, v4, v40
	;; [unrolled: 1-line block ×3, first 2 shown]
	v_ffbh_u32_e32 v30, v10
	v_min_u32_e32 v30, 32, v30
	v_lshrrev_b32_e32 v55, 29, v5
	v_not_b32_e32 v40, v30
	v_alignbit_b32 v4, v10, v4, v40
	v_lshlrev_b32_e32 v10, 31, v55
	v_or_b32_e32 v40, 0x33000000, v10
	v_add_lshl_u32 v30, v30, v32, 23
	v_lshrrev_b32_e32 v4, 9, v4
	v_sub_u32_e32 v30, v40, v30
	v_or_b32_e32 v10, 0.5, v10
	v_lshlrev_b32_e32 v32, 23, v32
	v_or_b32_e32 v4, v30, v4
	v_lshrrev_b32_e32 v30, 9, v44
	v_sub_u32_e32 v10, v10, v32
	v_or_b32_e32 v10, v30, v10
	v_mul_f32_e32 v30, 0x3fc90fda, v10
	v_fma_f32 v32, v10, s70, -v30
	v_fmac_f32_e32 v32, 0x33a22168, v10
	v_fmac_f32_e32 v32, 0x3fc90fda, v4
	v_lshrrev_b32_e32 v4, 30, v5
	v_mov_b32_e32 v62, v19
	v_not_b32_e32 v63, 31
	v_add_f32_e32 v32, v30, v32
	v_add_u32_e32 v30, v57, v4
.LBB1_125:                              ;   in Loop: Header=BB1_29 Depth=1
	s_or_saveexec_b64 s[16:17], s[46:47]
	v_mul_f32_e64 v4, |v0|, s71
	v_rndne_f32_e32 v44, v4
	s_xor_b64 exec, exec, s[16:17]
; %bb.126:                              ;   in Loop: Header=BB1_29 Depth=1
	v_cvt_i32_f32_e32 v30, v44
	v_fma_f32 v32, v44, s72, |v0|
	v_fmac_f32_e32 v32, 0xb3a22168, v44
	v_fmac_f32_e32 v32, 0xa7c234c4, v44
; %bb.127:                              ;   in Loop: Header=BB1_29 Depth=1
	s_or_b64 exec, exec, s[16:17]
                                        ; implicit-def: $vgpr10
                                        ; implicit-def: $vgpr40
	s_and_saveexec_b64 s[16:17], s[44:45]
	s_xor_b64 s[44:45], exec, s[16:17]
	s_cbranch_execz .LBB1_129
; %bb.128:                              ;   in Loop: Header=BB1_29 Depth=1
	v_mad_u64_u32 v[4:5], s[16:17], v35, s63, 0
	v_cmp_lt_u32_e32 vcc, 63, v39
	v_mov_b32_e32 v10, v5
	v_mad_u64_u32 v[55:56], s[16:17], v35, s64, v[10:11]
	v_cndmask_b32_e32 v5, 0, v60, vcc
	v_add_u32_e32 v5, v5, v39
	v_mov_b32_e32 v10, v56
	v_mad_u64_u32 v[56:57], s[16:17], v35, s65, v[10:11]
	v_mov_b32_e32 v10, v57
	v_mad_u64_u32 v[57:58], s[16:17], v35, s66, v[10:11]
	v_cndmask_b32_e32 v4, v56, v4, vcc
	v_mov_b32_e32 v10, v58
	v_mad_u64_u32 v[39:40], s[16:17], v35, s67, v[10:11]
	v_cmp_lt_u32_e64 s[16:17], 31, v5
	v_cndmask_b32_e64 v10, 0, v63, s[16:17]
	v_add_u32_e32 v5, v10, v5
	v_mov_b32_e32 v10, v40
	v_mad_u64_u32 v[58:59], s[18:19], v35, s68, v[10:11]
	v_cmp_lt_u32_e64 s[18:19], 31, v5
	v_cndmask_b32_e64 v10, 0, v63, s[18:19]
	v_add_u32_e32 v5, v10, v5
	v_mov_b32_e32 v10, v59
	v_mad_u64_u32 v[61:62], s[20:21], v35, s69, v[10:11]
	v_cndmask_b32_e32 v10, v39, v56, vcc
	v_cndmask_b32_e32 v35, v58, v57, vcc
	;; [unrolled: 1-line block ×4, first 2 shown]
	v_cndmask_b32_e64 v40, v35, v10, s[16:17]
	v_cndmask_b32_e64 v35, v39, v35, s[16:17]
	;; [unrolled: 1-line block ×5, first 2 shown]
	v_sub_u32_e32 v44, 32, v5
	v_alignbit_b32 v46, v39, v35, v44
	v_cmp_eq_u32_e64 s[20:21], 0, v5
	v_cndmask_b32_e64 v5, v46, v39, s[20:21]
	v_cndmask_b32_e32 v39, v57, v55, vcc
	v_cndmask_b32_e64 v10, v10, v39, s[16:17]
	v_cndmask_b32_e64 v40, v40, v10, s[18:19]
	v_alignbit_b32 v46, v35, v40, v44
	v_cndmask_b32_e64 v35, v46, v35, s[20:21]
	v_bfe_u32 v57, v5, 29, 1
	v_cndmask_b32_e64 v4, v39, v4, s[16:17]
	v_alignbit_b32 v46, v5, v35, 30
	v_sub_u32_e32 v58, 0, v57
	v_cndmask_b32_e64 v4, v10, v4, s[18:19]
	v_xor_b32_e32 v46, v46, v58
	v_alignbit_b32 v10, v40, v4, v44
	v_cndmask_b32_e64 v10, v10, v40, s[20:21]
	v_ffbh_u32_e32 v39, v46
	v_alignbit_b32 v35, v35, v10, 30
	v_min_u32_e32 v39, 32, v39
	v_alignbit_b32 v4, v10, v4, 30
	v_xor_b32_e32 v35, v35, v58
	v_sub_u32_e32 v40, 31, v39
	v_xor_b32_e32 v4, v4, v58
	v_alignbit_b32 v44, v46, v35, v40
	v_alignbit_b32 v4, v35, v4, v40
	;; [unrolled: 1-line block ×3, first 2 shown]
	v_ffbh_u32_e32 v35, v10
	v_min_u32_e32 v35, 32, v35
	v_lshrrev_b32_e32 v55, 29, v5
	v_not_b32_e32 v40, v35
	v_alignbit_b32 v4, v10, v4, v40
	v_lshlrev_b32_e32 v10, 31, v55
	v_or_b32_e32 v40, 0x33000000, v10
	v_add_lshl_u32 v35, v35, v39, 23
	v_lshrrev_b32_e32 v4, 9, v4
	v_sub_u32_e32 v35, v40, v35
	v_or_b32_e32 v10, 0.5, v10
	v_lshlrev_b32_e32 v39, 23, v39
	v_or_b32_e32 v4, v35, v4
	v_lshrrev_b32_e32 v35, 9, v44
	v_sub_u32_e32 v10, v10, v39
	v_or_b32_e32 v10, v35, v10
	v_mul_f32_e32 v35, 0x3fc90fda, v10
	v_fma_f32 v39, v10, s70, -v35
	v_fmac_f32_e32 v39, 0x33a22168, v10
	v_fmac_f32_e32 v39, 0x3fc90fda, v4
	v_lshrrev_b32_e32 v4, 30, v5
	v_mov_b32_e32 v62, v19
	v_add_f32_e32 v40, v35, v39
	v_add_u32_e32 v10, v57, v4
                                        ; implicit-def: $vgpr44
	s_andn2_saveexec_b64 s[16:17], s[44:45]
	s_cbranch_execnz .LBB1_130
	s_branch .LBB1_131
.LBB1_129:                              ;   in Loop: Header=BB1_29 Depth=1
	s_andn2_saveexec_b64 s[16:17], s[44:45]
.LBB1_130:                              ;   in Loop: Header=BB1_29 Depth=1
	v_cvt_i32_f32_e32 v10, v44
	v_fma_f32 v40, v44, s72, |v0|
	v_fmac_f32_e32 v40, 0xb3a22168, v44
	v_fmac_f32_e32 v40, 0xa7c234c4, v44
.LBB1_131:                              ;   in Loop: Header=BB1_29 Depth=1
	s_or_b64 exec, exec, s[16:17]
	s_waitcnt vmcnt(0)
	v_mul_f32_e32 v4, v15, v27
	v_mul_f32_e32 v5, v32, v32
	v_mov_b32_e32 v15, 0x3c0881c4
	v_fmac_f32_e32 v15, 0xb94c1982, v5
	v_mov_b32_e32 v26, 0xbe2aaa9d
	v_fma_f32 v15, v5, v15, v26
	v_mul_f32_e32 v15, v5, v15
	v_fmac_f32_e32 v32, v32, v15
	v_mov_b32_e32 v15, 0xbab64f3b
	v_fmac_f32_e32 v15, 0x37d75334, v5
	v_mov_b32_e32 v35, 0x3d2aabf7
	v_fma_f32 v15, v5, v15, v35
	v_fma_f32 v15, v5, v15, v51
	v_fma_f32 v5, v5, v15, 1.0
	v_and_b32_e32 v15, 1, v30
	v_cmp_eq_u32_e32 vcc, 0, v15
	v_lshlrev_b32_e32 v15, 30, v30
	v_cndmask_b32_e64 v5, -v32, v5, vcc
	v_and_b32_e32 v15, 0x80000000, v15
	v_xor_b32_e32 v5, v15, v5
	v_cmp_class_f32_e64 vcc, v0, s73
	v_cndmask_b32_e32 v5, v50, v5, vcc
	v_mul_f32_e32 v15, v4, v5
	v_mul_f32_e32 v4, v25, v27
	;; [unrolled: 1-line block ×3, first 2 shown]
	v_mov_b32_e32 v25, 0x3c0881c4
	v_fmac_f32_e32 v25, 0xb94c1982, v5
	v_fma_f32 v25, v5, v25, v26
	v_mul_f32_e32 v25, v5, v25
	v_fmac_f32_e32 v40, v40, v25
	v_mov_b32_e32 v25, 0xbab64f3b
	v_fmac_f32_e32 v25, 0x37d75334, v5
	v_fma_f32 v25, v5, v25, v35
	v_fma_f32 v25, v5, v25, v51
	v_fma_f32 v5, v5, v25, 1.0
	v_and_b32_e32 v25, 1, v10
	v_lshlrev_b32_e32 v10, 30, v10
	v_cmp_eq_u32_e64 s[16:17], 0, v25
	v_and_b32_e32 v10, 0x80000000, v10
	v_xor_b32_e32 v0, v1, v0
	v_cndmask_b32_e64 v5, v5, v40, s[16:17]
	v_xor_b32_e32 v0, v0, v10
	v_xor_b32_e32 v0, v0, v5
	v_cndmask_b32_e32 v0, v50, v0, vcc
	v_mov_b32_e32 v31, 0xbe2aaa9d
	v_mov_b32_e32 v26, 0x3d2aabf7
	v_mul_f32_e32 v25, v4, v0
.LBB1_132:                              ;   in Loop: Header=BB1_29 Depth=1
	s_or_b64 exec, exec, s[42:43]
                                        ; implicit-def: $vgpr0
.LBB1_133:                              ;   in Loop: Header=BB1_29 Depth=1
	s_andn2_saveexec_b64 s[16:17], s[40:41]
	s_cbranch_execz .LBB1_137
; %bb.134:                              ;   in Loop: Header=BB1_29 Depth=1
	v_cmp_eq_u32_e32 vcc, 29, v0
	s_and_saveexec_b64 s[18:19], vcc
	s_cbranch_execz .LBB1_136
; %bb.135:                              ;   in Loop: Header=BB1_29 Depth=1
	buffer_load_dword v15, off, s[84:87], 0 offset:20 ; 4-byte Folded Reload
	s_waitcnt vmcnt(2)
	v_mov_b32_e32 v25, v23
.LBB1_136:                              ;   in Loop: Header=BB1_29 Depth=1
	s_or_b64 exec, exec, s[18:19]
.LBB1_137:                              ;   in Loop: Header=BB1_29 Depth=1
	s_or_b64 exec, exec, s[16:17]
.LBB1_138:                              ;   in Loop: Header=BB1_29 Depth=1
	s_andn2_saveexec_b64 s[16:17], s[34:35]
	s_cbranch_execz .LBB1_140
; %bb.139:                              ;   in Loop: Header=BB1_29 Depth=1
	buffer_load_dword v25, off, s[84:87], 0 offset:236 ; 4-byte Folded Reload
	buffer_load_dword v15, off, s[84:87], 0 offset:232 ; 4-byte Folded Reload
.LBB1_140:                              ;   in Loop: Header=BB1_29 Depth=1
	s_or_b64 exec, exec, s[16:17]
                                        ; implicit-def: $vgpr0
.LBB1_141:                              ;   in Loop: Header=BB1_29 Depth=1
	s_andn2_saveexec_b64 s[16:17], s[30:31]
	s_cbranch_execz .LBB1_155
; %bb.142:                              ;   in Loop: Header=BB1_29 Depth=1
	v_cmp_lt_i32_e32 vcc, 26, v0
	s_and_saveexec_b64 s[18:19], vcc
	s_xor_b64 s[18:19], exec, s[18:19]
; %bb.143:                              ;   in Loop: Header=BB1_29 Depth=1
                                        ; implicit-def: $vgpr25
                                        ; implicit-def: $vgpr15
                                        ; implicit-def: $vgpr0
; %bb.144:                              ;   in Loop: Header=BB1_29 Depth=1
	s_or_saveexec_b64 s[18:19], s[18:19]
	buffer_load_dword v1, off, s[84:87], 0 offset:16 ; 4-byte Folded Reload
	buffer_load_dword v10, off, s[84:87], 0 offset:12 ; 4-byte Folded Reload
	s_xor_b64 exec, exec, s[18:19]
	s_cbranch_execz .LBB1_154
; %bb.145:                              ;   in Loop: Header=BB1_29 Depth=1
	v_cmp_eq_u32_e32 vcc, 22, v0
	s_and_saveexec_b64 s[20:21], vcc
	s_cbranch_execz .LBB1_153
; %bb.146:                              ;   in Loop: Header=BB1_29 Depth=1
	buffer_load_dword v0, off, s[84:87], 0 offset:164 ; 4-byte Folded Reload
	s_and_saveexec_b64 s[30:31], s[36:37]
	s_cbranch_execz .LBB1_152
; %bb.147:                              ;   in Loop: Header=BB1_29 Depth=1
	buffer_load_dword v0, off, s[84:87], 0 offset:192 ; 4-byte Folded Reload
	s_waitcnt vmcnt(3)
	v_mov_b32_e32 v1, v53
	s_and_saveexec_b64 s[34:35], s[0:1]
	s_cbranch_execz .LBB1_151
; %bb.148:                              ;   in Loop: Header=BB1_29 Depth=1
	buffer_load_dword v0, off, s[84:87], 0 offset:192 ; 4-byte Folded Reload
	s_mov_b64 s[40:41], 0
	v_mov_b32_e32 v1, v53
.LBB1_149:                              ;   Parent Loop BB1_29 Depth=1
                                        ; =>  This Inner Loop Header: Depth=2
	s_waitcnt vmcnt(0)
	v_mul_f32_e32 v4, v62, v0
	v_rndne_f32_e32 v4, v4
	v_fma_f32 v0, -v4, v33, v0
	v_add_f32_e32 v4, v33, v0
	v_cmp_gt_f32_e32 vcc, 0, v0
	v_cndmask_b32_e32 v0, v0, v4, vcc
	v_cmp_gt_u32_e32 vcc, 25, v1
	v_ldexp_f32 v0, v0, 12
	s_or_b64 s[40:41], vcc, s[40:41]
	v_add_u32_e32 v1, -12, v1
	s_andn2_b64 exec, exec, s[40:41]
	s_cbranch_execnz .LBB1_149
; %bb.150:                              ;   in Loop: Header=BB1_29 Depth=1
	s_or_b64 exec, exec, s[40:41]
.LBB1_151:                              ;   in Loop: Header=BB1_29 Depth=1
	s_or_b64 exec, exec, s[34:35]
	v_add_u32_e32 v1, -11, v1
	s_waitcnt vmcnt(0)
	v_ldexp_f32 v0, v0, v1
	v_mul_f32_e32 v1, v62, v0
	v_rndne_f32_e32 v1, v1
	v_fma_f32 v0, -v1, v33, v0
	v_add_f32_e32 v1, v33, v0
	v_cmp_gt_f32_e32 vcc, 0, v0
	v_cndmask_b32_e32 v0, v0, v1, vcc
	buffer_load_dword v1, off, s[84:87], 0 offset:196 ; 4-byte Folded Reload
	s_waitcnt vmcnt(0)
	v_ldexp_f32 v0, v0, v1
	buffer_load_dword v1, off, s[84:87], 0 offset:200 ; 4-byte Folded Reload
	s_waitcnt vmcnt(0)
	v_xor_b32_e32 v0, v1, v0
.LBB1_152:                              ;   in Loop: Header=BB1_29 Depth=1
	s_or_b64 exec, exec, s[30:31]
	buffer_load_dword v1, off, s[84:87], 0 offset:168 ; 4-byte Folded Reload
	buffer_load_dword v25, off, s[84:87], 0 offset:172 ; 4-byte Folded Reload
	;; [unrolled: 1-line block ×3, first 2 shown]
	s_waitcnt vmcnt(3)
	v_cndmask_b32_e64 v0, v0, v50, s[2:3]
	v_cndmask_b32_e64 v0, v50, v0, s[4:5]
	v_and_b32_e32 v15, 0x7fffffff, v49
	v_cndmask_b32_e64 v27, 0, 1, s[6:7]
	s_waitcnt vmcnt(2)
	v_cmp_gt_f32_e32 vcc, v0, v1
	s_waitcnt vmcnt(1)
	v_cndmask_b32_e32 v15, v15, v25, vcc
	v_cndmask_b32_e64 v25, 0, 1, s[8:9]
	v_cndmask_b32_e32 v25, v27, v25, vcc
	buffer_load_dword v27, off, s[84:87], 0 offset:184 ; 4-byte Folded Reload
	buffer_load_dword v30, off, s[84:87], 0 offset:188 ; 4-byte Folded Reload
	v_cndmask_b32_e32 v0, v18, v12, vcc
	v_cndmask_b32_e32 v1, v17, v43, vcc
	s_waitcnt vmcnt(2)
	v_cndmask_b32_e32 v10, v49, v10, vcc
	v_cndmask_b32_e32 v4, v3, v42, vcc
	;; [unrolled: 1-line block ×3, first 2 shown]
	v_xor_b32_e32 v0, v0, v10
	v_and_b32_e32 v25, 1, v25
	v_xor_b32_e32 v0, v0, v15
	s_waitcnt vmcnt(0)
	v_cndmask_b32_e32 v27, v27, v30, vcc
	v_cmp_eq_u32_e32 vcc, 0, v1
	v_cndmask_b32_e32 v1, v4, v5, vcc
	v_xor_b32_e32 v0, v0, v1
	v_cmp_eq_u32_e32 vcc, 1, v25
	v_cndmask_b32_e32 v0, v50, v0, vcc
	v_mul_f32_e32 v25, v24, v0
	v_mul_f32_e32 v15, v24, v27
.LBB1_153:                              ;   in Loop: Header=BB1_29 Depth=1
	s_or_b64 exec, exec, s[20:21]
	s_waitcnt vmcnt(1)
	v_mov_b32_e32 v1, v25
	s_waitcnt vmcnt(0)
	v_mov_b32_e32 v10, v15
.LBB1_154:                              ;   in Loop: Header=BB1_29 Depth=1
	s_or_b64 exec, exec, s[18:19]
	s_waitcnt vmcnt(1)
	v_mov_b32_e32 v25, v1
	s_waitcnt vmcnt(0)
	v_mov_b32_e32 v15, v10
.LBB1_155:                              ;   in Loop: Header=BB1_29 Depth=1
	s_or_b64 exec, exec, s[16:17]
                                        ; implicit-def: $vgpr0
.LBB1_156:                              ;   in Loop: Header=BB1_29 Depth=1
	s_andn2_saveexec_b64 s[16:17], s[28:29]
	s_cbranch_execz .LBB1_174
; %bb.157:                              ;   in Loop: Header=BB1_29 Depth=1
	v_cmp_lt_i32_e32 vcc, 19, v0
                                        ; implicit-def: $vgpr25
                                        ; implicit-def: $vgpr15
	s_and_saveexec_b64 s[18:19], vcc
	s_xor_b64 s[18:19], exec, s[18:19]
	s_cbranch_execz .LBB1_169
; %bb.158:                              ;   in Loop: Header=BB1_29 Depth=1
	v_cmp_lt_i32_e32 vcc, 20, v0
                                        ; implicit-def: $vgpr25
                                        ; implicit-def: $vgpr15
	s_and_saveexec_b64 s[20:21], vcc
	s_xor_b64 s[20:21], exec, s[20:21]
	s_cbranch_execz .LBB1_166
; %bb.159:                              ;   in Loop: Header=BB1_29 Depth=1
	v_mov_b32_e32 v0, v16
	s_and_saveexec_b64 s[28:29], s[38:39]
	s_cbranch_execz .LBB1_165
; %bb.160:                              ;   in Loop: Header=BB1_29 Depth=1
	buffer_load_dword v0, off, s[84:87], 0 offset:140 ; 4-byte Folded Reload
	v_mov_b32_e32 v1, v38
	s_and_saveexec_b64 s[30:31], s[10:11]
	s_cbranch_execz .LBB1_164
; %bb.161:                              ;   in Loop: Header=BB1_29 Depth=1
	buffer_load_dword v0, off, s[84:87], 0 offset:140 ; 4-byte Folded Reload
	s_mov_b64 s[34:35], 0
	v_mov_b32_e32 v1, v38
.LBB1_162:                              ;   Parent Loop BB1_29 Depth=1
                                        ; =>  This Inner Loop Header: Depth=2
	s_waitcnt vmcnt(0)
	v_mul_f32_e32 v4, v36, v0
	v_rndne_f32_e32 v4, v4
	v_fma_f32 v0, -v4, v34, v0
	v_add_f32_e32 v4, v34, v0
	v_cmp_gt_f32_e32 vcc, 0, v0
	v_cndmask_b32_e32 v0, v0, v4, vcc
	v_cmp_gt_u32_e32 vcc, 25, v1
	v_ldexp_f32 v0, v0, 12
	s_or_b64 s[34:35], vcc, s[34:35]
	v_add_u32_e32 v1, -12, v1
	s_andn2_b64 exec, exec, s[34:35]
	s_cbranch_execnz .LBB1_162
; %bb.163:                              ;   in Loop: Header=BB1_29 Depth=1
	s_or_b64 exec, exec, s[34:35]
.LBB1_164:                              ;   in Loop: Header=BB1_29 Depth=1
	s_or_b64 exec, exec, s[30:31]
	v_add_u32_e32 v1, -11, v1
	s_waitcnt vmcnt(0)
	v_ldexp_f32 v0, v0, v1
	v_mul_f32_e32 v1, v36, v0
	v_rndne_f32_e32 v1, v1
	v_fma_f32 v0, -v1, v34, v0
	v_add_f32_e32 v1, v34, v0
	v_cmp_gt_f32_e32 vcc, 0, v0
	v_cndmask_b32_e32 v0, v0, v1, vcc
	buffer_load_dword v1, off, s[84:87], 0 offset:176 ; 4-byte Folded Reload
	s_waitcnt vmcnt(0)
	v_ldexp_f32 v0, v0, v1
	buffer_load_dword v1, off, s[84:87], 0 offset:180 ; 4-byte Folded Reload
	s_waitcnt vmcnt(0)
	v_xor_b32_e32 v0, v1, v0
.LBB1_165:                              ;   in Loop: Header=BB1_29 Depth=1
	s_or_b64 exec, exec, s[28:29]
	buffer_load_dword v1, off, s[84:87], 0 offset:96 ; 4-byte Folded Reload
	v_cndmask_b32_e64 v0, v0, v50, s[12:13]
	v_cndmask_b32_e64 v0, v50, v0, s[14:15]
	v_sub_f32_e32 v0, v0, v20
	v_add_f32_e32 v0, v29, v0
	s_waitcnt vmcnt(1)
	v_mul_f32_e32 v15, v37, v0
	s_waitcnt vmcnt(0)
	v_mul_f32_e32 v25, v1, v0
.LBB1_166:                              ;   in Loop: Header=BB1_29 Depth=1
	s_andn2_saveexec_b64 s[20:21], s[20:21]
	s_cbranch_execz .LBB1_168
; %bb.167:                              ;   in Loop: Header=BB1_29 Depth=1
	buffer_load_dword v25, off, s[84:87], 0 offset:104 ; 4-byte Folded Reload
	buffer_load_dword v15, off, s[84:87], 0 offset:100 ; 4-byte Folded Reload
.LBB1_168:                              ;   in Loop: Header=BB1_29 Depth=1
	s_or_b64 exec, exec, s[20:21]
                                        ; implicit-def: $vgpr0
.LBB1_169:                              ;   in Loop: Header=BB1_29 Depth=1
	s_andn2_saveexec_b64 s[18:19], s[18:19]
	s_cbranch_execz .LBB1_173
; %bb.170:                              ;   in Loop: Header=BB1_29 Depth=1
	v_cmp_lt_i32_e32 vcc, 18, v0
	s_and_saveexec_b64 s[20:21], vcc
	s_xor_b64 s[20:21], exec, s[20:21]
	s_or_saveexec_b64 s[20:21], s[20:21]
	buffer_load_dword v25, off, s[84:87], 0 offset:60 ; 4-byte Folded Reload
	buffer_load_dword v15, off, s[84:87], 0 offset:56 ; 4-byte Folded Reload
	s_xor_b64 exec, exec, s[20:21]
	s_cbranch_execz .LBB1_172
; %bb.171:                              ;   in Loop: Header=BB1_29 Depth=1
	buffer_load_dword v25, off, s[84:87], 0 offset:160 ; 4-byte Folded Reload
	buffer_load_dword v15, off, s[84:87], 0 offset:156 ; 4-byte Folded Reload
.LBB1_172:                              ;   in Loop: Header=BB1_29 Depth=1
	s_or_b64 exec, exec, s[20:21]
.LBB1_173:                              ;   in Loop: Header=BB1_29 Depth=1
	s_or_b64 exec, exec, s[18:19]
.LBB1_174:                              ;   in Loop: Header=BB1_29 Depth=1
	s_or_b64 exec, exec, s[16:17]
.LBB1_175:                              ;   in Loop: Header=BB1_29 Depth=1
	s_or_b64 exec, exec, s[26:27]
                                        ; implicit-def: $vgpr0
.LBB1_176:                              ;   in Loop: Header=BB1_29 Depth=1
	s_andn2_saveexec_b64 s[24:25], s[24:25]
	s_cbranch_execz .LBB1_27
; %bb.177:                              ;   in Loop: Header=BB1_29 Depth=1
	v_cmp_lt_i32_e32 vcc, 8, v0
                                        ; implicit-def: $vgpr1
                                        ; implicit-def: $vgpr10
	s_and_saveexec_b64 s[16:17], vcc
	s_xor_b64 s[26:27], exec, s[16:17]
	s_cbranch_execz .LBB1_221
; %bb.178:                              ;   in Loop: Header=BB1_29 Depth=1
	v_cmp_lt_i32_e32 vcc, 12, v0
                                        ; implicit-def: $vgpr1
                                        ; implicit-def: $vgpr10
	s_and_saveexec_b64 s[16:17], vcc
	s_xor_b64 s[28:29], exec, s[16:17]
	;; [unrolled: 7-line block ×4, first 2 shown]
	s_cbranch_execz .LBB1_184
; %bb.181:                              ;   in Loop: Header=BB1_29 Depth=1
	v_cmp_lt_i32_e32 vcc, 16, v0
	s_and_saveexec_b64 s[20:21], vcc
	s_xor_b64 s[20:21], exec, s[20:21]
	s_or_saveexec_b64 s[20:21], s[20:21]
	v_mov_b32_e32 v1, v47
	v_mov_b32_e32 v10, v48
	s_xor_b64 exec, exec, s[20:21]
	s_cbranch_execz .LBB1_183
; %bb.182:                              ;   in Loop: Header=BB1_29 Depth=1
	buffer_load_dword v1, off, s[84:87], 0 offset:12 ; 4-byte Folded Reload
	buffer_load_dword v10, off, s[84:87], 0 offset:16 ; 4-byte Folded Reload
.LBB1_183:                              ;   in Loop: Header=BB1_29 Depth=1
	s_or_b64 exec, exec, s[20:21]
.LBB1_184:                              ;   in Loop: Header=BB1_29 Depth=1
	s_andn2_saveexec_b64 s[18:19], s[18:19]
	s_cbranch_execz .LBB1_186
; %bb.185:                              ;   in Loop: Header=BB1_29 Depth=1
	s_waitcnt vmcnt(1)
	v_mov_b32_e32 v1, v8
	s_waitcnt vmcnt(0)
	v_mov_b32_e32 v10, v41
.LBB1_186:                              ;   in Loop: Header=BB1_29 Depth=1
	s_or_b64 exec, exec, s[18:19]
                                        ; implicit-def: $vgpr0
.LBB1_187:                              ;   in Loop: Header=BB1_29 Depth=1
	s_andn2_saveexec_b64 s[30:31], s[16:17]
	s_cbranch_execz .LBB1_209
; %bb.188:                              ;   in Loop: Header=BB1_29 Depth=1
	v_cmp_lt_i32_e32 vcc, 13, v0
                                        ; implicit-def: $vgpr1
                                        ; implicit-def: $vgpr10
	s_and_saveexec_b64 s[16:17], vcc
	s_xor_b64 s[16:17], exec, s[16:17]
	s_cbranch_execz .LBB1_198
; %bb.189:                              ;   in Loop: Header=BB1_29 Depth=1
	buffer_load_dword v0, off, s[84:87], 0 offset:52 ; 4-byte Folded Reload
                                        ; implicit-def: $vgpr1
	s_waitcnt vmcnt(0)
	v_cmp_lt_i32_e32 vcc, 1, v0
	s_and_saveexec_b64 s[18:19], vcc
	s_xor_b64 s[18:19], exec, s[18:19]
	s_cbranch_execz .LBB1_193
; %bb.190:                              ;   in Loop: Header=BB1_29 Depth=1
	buffer_load_dword v0, off, s[84:87], 0 offset:52 ; 4-byte Folded Reload
	v_mov_b32_e32 v1, v23
	s_waitcnt vmcnt(0)
	v_cmp_gt_i32_e32 vcc, 3, v0
	s_and_saveexec_b64 s[20:21], vcc
; %bb.191:                              ;   in Loop: Header=BB1_29 Depth=1
	v_mul_f32_e32 v1, 0.5, v23
; %bb.192:                              ;   in Loop: Header=BB1_29 Depth=1
	s_or_b64 exec, exec, s[20:21]
.LBB1_193:                              ;   in Loop: Header=BB1_29 Depth=1
	s_or_saveexec_b64 s[18:19], s[18:19]
	v_mov_b32_e32 v10, v22
	s_xor_b64 exec, exec, s[18:19]
	s_cbranch_execz .LBB1_197
; %bb.194:                              ;   in Loop: Header=BB1_29 Depth=1
	buffer_load_dword v0, off, s[84:87], 0 offset:52 ; 4-byte Folded Reload
	s_waitcnt vmcnt(0)
	v_cmp_ne_u32_e32 vcc, 1, v0
	s_and_saveexec_b64 s[20:21], vcc
	s_xor_b64 s[20:21], exec, s[20:21]
	s_or_saveexec_b64 s[20:21], s[20:21]
	v_mul_f32_e32 v1, 0.5, v23
	s_xor_b64 exec, exec, s[20:21]
; %bb.195:                              ;   in Loop: Header=BB1_29 Depth=1
	v_mov_b32_e32 v1, v23
; %bb.196:                              ;   in Loop: Header=BB1_29 Depth=1
	s_or_b64 exec, exec, s[20:21]
	v_add_f32_e32 v10, v22, v22
.LBB1_197:                              ;   in Loop: Header=BB1_29 Depth=1
	s_or_b64 exec, exec, s[18:19]
.LBB1_198:                              ;   in Loop: Header=BB1_29 Depth=1
	s_andn2_saveexec_b64 s[34:35], s[16:17]
	s_cbranch_execz .LBB1_208
; %bb.199:                              ;   in Loop: Header=BB1_29 Depth=1
	buffer_load_dword v0, off, s[84:87], 0  ; 4-byte Folded Reload
	buffer_load_dword v1, off, s[84:87], 0 offset:4 ; 4-byte Folded Reload
                                        ; implicit-def: $vgpr15
                                        ; implicit-def: $vgpr25
	s_waitcnt vmcnt(0)
	global_load_dword v0, v[0:1], off
	s_nop 0
	buffer_load_dword v1, off, s[84:87], 0 offset:244 ; 4-byte Folded Reload
	s_waitcnt vmcnt(1)
	v_cmp_lt_f32_e32 vcc, 0.5, v0
	v_mov_b32_e32 v0, 0x40490fdb
	v_cndmask_b32_e64 v0, v0, 0, vcc
	s_waitcnt vmcnt(0)
	v_add_f32_e32 v0, v1, v0
	v_and_b32_e32 v1, 0x7fffffff, v0
	v_lshrrev_b32_e32 v4, 23, v1
	v_and_b32_e32 v5, 0x7fffff, v1
	v_cmp_nlt_f32_e64 s[40:41], |v0|, s33
	v_add_u32_e32 v30, 0xffffff88, v4
	v_or_b32_e32 v27, 0x800000, v5
	s_and_saveexec_b64 s[16:17], s[40:41]
	s_xor_b64 s[42:43], exec, s[16:17]
	s_cbranch_execz .LBB1_201
; %bb.200:                              ;   in Loop: Header=BB1_29 Depth=1
	v_mad_u64_u32 v[39:40], s[16:17], v27, s63, 0
	v_cmp_lt_u32_e32 vcc, 63, v30
	v_cndmask_b32_e32 v4, 0, v60, vcc
	v_mov_b32_e32 v10, v40
	v_mad_u64_u32 v[55:56], s[16:17], v27, s64, v[10:11]
	v_add_u32_e32 v4, v4, v30
	v_not_b32_e32 v5, 31
	v_mov_b32_e32 v10, v56
	v_mad_u64_u32 v[58:59], s[16:17], v27, s65, v[10:11]
	v_mov_b32_e32 v10, v59
	v_mad_u64_u32 v[61:62], s[16:17], v27, s66, v[10:11]
	v_cndmask_b32_e32 v39, v58, v39, vcc
	v_mov_b32_e32 v10, v62
	v_mad_u64_u32 v[62:63], s[16:17], v27, s67, v[10:11]
	v_cmp_lt_u32_e64 s[16:17], 31, v4
	v_cndmask_b32_e64 v5, 0, v5, s[16:17]
	v_mov_b32_e32 v10, v63
	v_mad_u64_u32 v[56:57], s[18:19], v27, s68, v[10:11]
	v_add_u32_e32 v4, v5, v4
	v_not_b32_e32 v63, 31
	v_cmp_lt_u32_e64 s[18:19], 31, v4
	v_cndmask_b32_e64 v5, 0, v63, s[18:19]
	v_mov_b32_e32 v10, v57
	v_add_u32_e32 v15, v5, v4
	v_mad_u64_u32 v[4:5], s[20:21], v27, s69, v[10:11]
	v_cndmask_b32_e32 v10, v62, v58, vcc
	v_cndmask_b32_e32 v25, v56, v61, vcc
	;; [unrolled: 1-line block ×4, first 2 shown]
	v_cndmask_b32_e64 v32, v25, v10, s[16:17]
	v_cndmask_b32_e64 v25, v4, v25, s[16:17]
	;; [unrolled: 1-line block ×5, first 2 shown]
	v_sub_u32_e32 v25, 32, v15
	v_cmp_eq_u32_e64 s[20:21], 0, v15
	v_cndmask_b32_e32 v15, v61, v55, vcc
	v_cndmask_b32_e64 v10, v10, v15, s[16:17]
	v_alignbit_b32 v35, v4, v5, v25
	v_cndmask_b32_e64 v32, v32, v10, s[18:19]
	v_cndmask_b32_e64 v4, v35, v4, s[20:21]
	v_alignbit_b32 v35, v5, v32, v25
	v_cndmask_b32_e64 v5, v35, v5, s[20:21]
	v_bfe_u32 v44, v4, 29, 1
	v_cndmask_b32_e64 v15, v15, v39, s[16:17]
	v_alignbit_b32 v35, v4, v5, 30
	v_sub_u32_e32 v46, 0, v44
	v_cndmask_b32_e64 v10, v10, v15, s[18:19]
	v_xor_b32_e32 v35, v35, v46
	v_alignbit_b32 v15, v32, v10, v25
	v_cndmask_b32_e64 v15, v15, v32, s[20:21]
	v_ffbh_u32_e32 v25, v35
	v_alignbit_b32 v5, v5, v15, 30
	v_min_u32_e32 v25, 32, v25
	v_alignbit_b32 v10, v15, v10, 30
	v_xor_b32_e32 v5, v5, v46
	v_sub_u32_e32 v32, 31, v25
	v_xor_b32_e32 v10, v10, v46
	v_alignbit_b32 v35, v35, v5, v32
	v_alignbit_b32 v5, v5, v10, v32
	;; [unrolled: 1-line block ×3, first 2 shown]
	v_ffbh_u32_e32 v15, v10
	v_min_u32_e32 v15, 32, v15
	v_lshrrev_b32_e32 v40, 29, v4
	v_not_b32_e32 v32, v15
	v_alignbit_b32 v5, v10, v5, v32
	v_lshlrev_b32_e32 v10, 31, v40
	v_or_b32_e32 v32, 0x33000000, v10
	v_add_lshl_u32 v15, v15, v25, 23
	v_lshrrev_b32_e32 v5, 9, v5
	v_sub_u32_e32 v15, v32, v15
	v_or_b32_e32 v10, 0.5, v10
	v_lshlrev_b32_e32 v25, 23, v25
	v_or_b32_e32 v5, v15, v5
	v_lshrrev_b32_e32 v15, 9, v35
	v_sub_u32_e32 v10, v10, v25
	v_or_b32_e32 v10, v15, v10
	v_mul_f32_e32 v15, 0x3fc90fda, v10
	v_fma_f32 v25, v10, s70, -v15
	v_fmac_f32_e32 v25, 0x33a22168, v10
	v_fmac_f32_e32 v25, 0x3fc90fda, v5
	v_lshrrev_b32_e32 v4, 30, v4
	v_mov_b32_e32 v62, v19
	v_add_f32_e32 v25, v15, v25
	v_add_u32_e32 v15, v44, v4
.LBB1_201:                              ;   in Loop: Header=BB1_29 Depth=1
	s_or_saveexec_b64 s[16:17], s[42:43]
	v_mul_f32_e64 v4, |v0|, s71
	v_rndne_f32_e32 v10, v4
	s_xor_b64 exec, exec, s[16:17]
; %bb.202:                              ;   in Loop: Header=BB1_29 Depth=1
	v_cvt_i32_f32_e32 v15, v10
	v_fma_f32 v25, v10, s72, |v0|
	v_fmac_f32_e32 v25, 0xb3a22168, v10
	v_fmac_f32_e32 v25, 0xa7c234c4, v10
; %bb.203:                              ;   in Loop: Header=BB1_29 Depth=1
	s_or_b64 exec, exec, s[16:17]
                                        ; implicit-def: $vgpr32
                                        ; implicit-def: $vgpr35
	s_and_saveexec_b64 s[16:17], s[40:41]
	s_xor_b64 s[40:41], exec, s[16:17]
	s_cbranch_execz .LBB1_205
; %bb.204:                              ;   in Loop: Header=BB1_29 Depth=1
	v_mad_u64_u32 v[4:5], s[16:17], v27, s63, 0
	v_cmp_lt_u32_e32 vcc, 63, v30
	v_mov_b32_e32 v10, v5
	v_mad_u64_u32 v[39:40], s[16:17], v27, s64, v[10:11]
	v_cndmask_b32_e32 v5, 0, v60, vcc
	v_add_u32_e32 v5, v5, v30
	v_mov_b32_e32 v10, v40
	v_mad_u64_u32 v[55:56], s[16:17], v27, s65, v[10:11]
	v_mov_b32_e32 v10, v56
	v_mad_u64_u32 v[56:57], s[16:17], v27, s66, v[10:11]
	v_cndmask_b32_e32 v4, v55, v4, vcc
	v_mov_b32_e32 v10, v57
	v_mad_u64_u32 v[57:58], s[16:17], v27, s67, v[10:11]
	v_cmp_lt_u32_e64 s[16:17], 31, v5
	v_cndmask_b32_e64 v10, 0, v63, s[16:17]
	v_add_u32_e32 v5, v10, v5
	v_mov_b32_e32 v10, v58
	v_mad_u64_u32 v[58:59], s[18:19], v27, s68, v[10:11]
	v_cmp_lt_u32_e64 s[18:19], 31, v5
	v_cndmask_b32_e64 v10, 0, v63, s[18:19]
	v_add_u32_e32 v5, v10, v5
	v_mov_b32_e32 v10, v59
	v_mad_u64_u32 v[61:62], s[20:21], v27, s69, v[10:11]
	v_cndmask_b32_e32 v10, v57, v55, vcc
	v_cndmask_b32_e32 v27, v58, v56, vcc
	;; [unrolled: 1-line block ×4, first 2 shown]
	v_cndmask_b32_e64 v30, v27, v10, s[16:17]
	v_cndmask_b32_e64 v27, v32, v27, s[16:17]
	;; [unrolled: 1-line block ×5, first 2 shown]
	v_sub_u32_e32 v35, 32, v5
	v_alignbit_b32 v40, v32, v27, v35
	v_cmp_eq_u32_e64 s[20:21], 0, v5
	v_cndmask_b32_e64 v5, v40, v32, s[20:21]
	v_cndmask_b32_e32 v32, v56, v39, vcc
	v_cndmask_b32_e64 v10, v10, v32, s[16:17]
	v_cndmask_b32_e64 v30, v30, v10, s[18:19]
	v_alignbit_b32 v39, v27, v30, v35
	v_cndmask_b32_e64 v27, v39, v27, s[20:21]
	v_bfe_u32 v44, v5, 29, 1
	v_cndmask_b32_e64 v4, v32, v4, s[16:17]
	v_alignbit_b32 v39, v5, v27, 30
	v_sub_u32_e32 v46, 0, v44
	v_cndmask_b32_e64 v4, v10, v4, s[18:19]
	v_xor_b32_e32 v39, v39, v46
	v_alignbit_b32 v10, v30, v4, v35
	v_cndmask_b32_e64 v10, v10, v30, s[20:21]
	v_ffbh_u32_e32 v30, v39
	v_alignbit_b32 v27, v27, v10, 30
	v_min_u32_e32 v30, 32, v30
	v_alignbit_b32 v4, v10, v4, 30
	v_xor_b32_e32 v27, v27, v46
	v_sub_u32_e32 v32, 31, v30
	v_xor_b32_e32 v4, v4, v46
	v_alignbit_b32 v35, v39, v27, v32
	v_alignbit_b32 v4, v27, v4, v32
	;; [unrolled: 1-line block ×3, first 2 shown]
	v_ffbh_u32_e32 v27, v10
	v_min_u32_e32 v27, 32, v27
	v_lshrrev_b32_e32 v40, 29, v5
	v_not_b32_e32 v32, v27
	v_alignbit_b32 v4, v10, v4, v32
	v_lshlrev_b32_e32 v10, 31, v40
	v_or_b32_e32 v32, 0x33000000, v10
	v_add_lshl_u32 v27, v27, v30, 23
	v_lshrrev_b32_e32 v4, 9, v4
	v_sub_u32_e32 v27, v32, v27
	v_or_b32_e32 v10, 0.5, v10
	v_lshlrev_b32_e32 v30, 23, v30
	v_or_b32_e32 v4, v27, v4
	v_lshrrev_b32_e32 v27, 9, v35
	v_sub_u32_e32 v10, v10, v30
	v_or_b32_e32 v10, v27, v10
	v_mul_f32_e32 v27, 0x3fc90fda, v10
	v_fma_f32 v30, v10, s70, -v27
	v_fmac_f32_e32 v30, 0x33a22168, v10
	v_fmac_f32_e32 v30, 0x3fc90fda, v4
	v_lshrrev_b32_e32 v4, 30, v5
	v_mov_b32_e32 v62, v19
	v_add_f32_e32 v35, v27, v30
	v_add_u32_e32 v32, v44, v4
                                        ; implicit-def: $vgpr10
	s_andn2_saveexec_b64 s[16:17], s[40:41]
	s_cbranch_execnz .LBB1_206
	s_branch .LBB1_207
.LBB1_205:                              ;   in Loop: Header=BB1_29 Depth=1
	s_andn2_saveexec_b64 s[16:17], s[40:41]
.LBB1_206:                              ;   in Loop: Header=BB1_29 Depth=1
	v_cvt_i32_f32_e32 v32, v10
	v_fma_f32 v35, v10, s72, |v0|
	v_fmac_f32_e32 v35, 0xb3a22168, v10
	v_fmac_f32_e32 v35, 0xa7c234c4, v10
.LBB1_207:                              ;   in Loop: Header=BB1_29 Depth=1
	s_or_b64 exec, exec, s[16:17]
	v_mul_f32_e32 v4, v25, v25
	v_mov_b32_e32 v5, 0x3c0881c4
	v_fmac_f32_e32 v5, 0xb94c1982, v4
	v_mov_b32_e32 v26, 0xbe2aaa9d
	v_fma_f32 v5, v4, v5, v26
	v_mul_f32_e32 v5, v4, v5
	v_fmac_f32_e32 v25, v25, v5
	v_mov_b32_e32 v5, 0xbab64f3b
	v_fmac_f32_e32 v5, 0x37d75334, v4
	v_mov_b32_e32 v27, 0x3d2aabf7
	v_fma_f32 v5, v4, v5, v27
	v_fma_f32 v5, v4, v5, v51
	v_fma_f32 v4, v4, v5, 1.0
	v_and_b32_e32 v5, 1, v15
	v_cmp_eq_u32_e32 vcc, 0, v5
	v_lshlrev_b32_e32 v5, 30, v15
	buffer_load_dword v15, off, s[84:87], 0 offset:240 ; 4-byte Folded Reload
	v_cndmask_b32_e64 v4, -v25, v4, vcc
	v_and_b32_e32 v5, 0x80000000, v5
	v_xor_b32_e32 v4, v5, v4
	v_cmp_class_f32_e64 vcc, v0, s73
	v_cndmask_b32_e32 v4, v50, v4, vcc
	v_mov_b32_e32 v5, 0x3c0881c4
	v_xor_b32_e32 v0, v1, v0
	v_mov_b32_e32 v31, 0xbe2aaa9d
	s_waitcnt vmcnt(0)
	v_mul_f32_e32 v10, v15, v4
	v_mul_f32_e32 v4, v35, v35
	v_fmac_f32_e32 v5, 0xb94c1982, v4
	v_fma_f32 v5, v4, v5, v26
	v_mul_f32_e32 v5, v4, v5
	v_fmac_f32_e32 v35, v35, v5
	v_mov_b32_e32 v5, 0xbab64f3b
	v_fmac_f32_e32 v5, 0x37d75334, v4
	v_fma_f32 v5, v4, v5, v27
	v_fma_f32 v5, v4, v5, v51
	v_fma_f32 v4, v4, v5, 1.0
	v_and_b32_e32 v5, 1, v32
	v_cmp_eq_u32_e64 s[16:17], 0, v5
	v_lshlrev_b32_e32 v5, 30, v32
	v_and_b32_e32 v5, 0x80000000, v5
	v_cndmask_b32_e64 v4, v4, v35, s[16:17]
	v_xor_b32_e32 v0, v0, v5
	v_xor_b32_e32 v0, v0, v4
	v_cndmask_b32_e32 v0, v50, v0, vcc
	v_mov_b32_e32 v26, 0x3d2aabf7
	v_mul_f32_e32 v1, v15, v0
.LBB1_208:                              ;   in Loop: Header=BB1_29 Depth=1
	s_or_b64 exec, exec, s[34:35]
.LBB1_209:                              ;   in Loop: Header=BB1_29 Depth=1
	s_or_b64 exec, exec, s[30:31]
                                        ; implicit-def: $vgpr0
.LBB1_210:                              ;   in Loop: Header=BB1_29 Depth=1
	s_andn2_saveexec_b64 s[16:17], s[28:29]
	s_cbranch_execz .LBB1_220
; %bb.211:                              ;   in Loop: Header=BB1_29 Depth=1
	v_cmp_lt_i32_e32 vcc, 10, v0
                                        ; implicit-def: $vgpr1
                                        ; implicit-def: $vgpr10
	s_and_saveexec_b64 s[18:19], vcc
	s_xor_b64 s[18:19], exec, s[18:19]
	s_cbranch_execz .LBB1_215
; %bb.212:                              ;   in Loop: Header=BB1_29 Depth=1
	v_cmp_lt_i32_e32 vcc, 11, v0
	s_and_saveexec_b64 s[20:21], vcc
	s_xor_b64 s[20:21], exec, s[20:21]
	s_or_saveexec_b64 s[20:21], s[20:21]
	buffer_load_dword v1, off, s[84:87], 0 offset:68 ; 4-byte Folded Reload
	buffer_load_dword v10, off, s[84:87], 0 offset:64 ; 4-byte Folded Reload
	s_xor_b64 exec, exec, s[20:21]
	s_cbranch_execz .LBB1_214
; %bb.213:                              ;   in Loop: Header=BB1_29 Depth=1
	buffer_load_dword v1, off, s[84:87], 0 offset:112 ; 4-byte Folded Reload
	buffer_load_dword v10, off, s[84:87], 0 offset:108 ; 4-byte Folded Reload
.LBB1_214:                              ;   in Loop: Header=BB1_29 Depth=1
	s_or_b64 exec, exec, s[20:21]
                                        ; implicit-def: $vgpr0
.LBB1_215:                              ;   in Loop: Header=BB1_29 Depth=1
	s_andn2_saveexec_b64 s[18:19], s[18:19]
	s_cbranch_execz .LBB1_219
; %bb.216:                              ;   in Loop: Header=BB1_29 Depth=1
	v_cmp_lt_i32_e32 vcc, 9, v0
	s_and_saveexec_b64 s[20:21], vcc
	s_xor_b64 s[20:21], exec, s[20:21]
	s_or_saveexec_b64 s[20:21], s[20:21]
	s_waitcnt vmcnt(1)
	v_mul_f32_e32 v1, v24, v37
	s_waitcnt vmcnt(0)
	v_mov_b32_e32 v10, v6
	s_xor_b64 exec, exec, s[20:21]
	s_cbranch_execz .LBB1_218
; %bb.217:                              ;   in Loop: Header=BB1_29 Depth=1
	buffer_load_dword v1, off, s[84:87], 0 offset:120 ; 4-byte Folded Reload
	buffer_load_dword v10, off, s[84:87], 0 offset:116 ; 4-byte Folded Reload
.LBB1_218:                              ;   in Loop: Header=BB1_29 Depth=1
	s_or_b64 exec, exec, s[20:21]
.LBB1_219:                              ;   in Loop: Header=BB1_29 Depth=1
	s_or_b64 exec, exec, s[18:19]
.LBB1_220:                              ;   in Loop: Header=BB1_29 Depth=1
	s_or_b64 exec, exec, s[16:17]
                                        ; implicit-def: $vgpr0
                                        ; implicit-def: $vgpr25
                                        ; implicit-def: $vgpr15
.LBB1_221:                              ;   in Loop: Header=BB1_29 Depth=1
	s_andn2_saveexec_b64 s[16:17], s[26:27]
	s_cbranch_execz .LBB1_26
; %bb.222:                              ;   in Loop: Header=BB1_29 Depth=1
	v_cmp_lt_i32_e32 vcc, 3, v0
                                        ; implicit-def: $vgpr1
                                        ; implicit-def: $vgpr10
	s_and_saveexec_b64 s[18:19], vcc
	s_xor_b64 s[18:19], exec, s[18:19]
	s_cbranch_execz .LBB1_236
; %bb.223:                              ;   in Loop: Header=BB1_29 Depth=1
	v_cmp_lt_i32_e32 vcc, 5, v0
                                        ; implicit-def: $vgpr1
                                        ; implicit-def: $vgpr10
	s_and_saveexec_b64 s[20:21], vcc
	s_xor_b64 s[20:21], exec, s[20:21]
	;; [unrolled: 7-line block ×3, first 2 shown]
	s_cbranch_execz .LBB1_228
; %bb.225:                              ;   in Loop: Header=BB1_29 Depth=1
	v_cmp_lt_i32_e32 vcc, 7, v0
	s_and_saveexec_b64 s[28:29], vcc
	s_xor_b64 s[28:29], exec, s[28:29]
	s_or_saveexec_b64 s[28:29], s[28:29]
	buffer_load_dword v1, off, s[84:87], 0 offset:128 ; 4-byte Folded Reload
	buffer_load_dword v10, off, s[84:87], 0 offset:124 ; 4-byte Folded Reload
	s_xor_b64 exec, exec, s[28:29]
	s_cbranch_execz .LBB1_227
; %bb.226:                              ;   in Loop: Header=BB1_29 Depth=1
	buffer_load_dword v1, off, s[84:87], 0 offset:152 ; 4-byte Folded Reload
	buffer_load_dword v10, off, s[84:87], 0 offset:148 ; 4-byte Folded Reload
.LBB1_227:                              ;   in Loop: Header=BB1_29 Depth=1
	s_or_b64 exec, exec, s[28:29]
.LBB1_228:                              ;   in Loop: Header=BB1_29 Depth=1
	s_andn2_saveexec_b64 s[26:27], s[26:27]
	s_cbranch_execz .LBB1_230
; %bb.229:                              ;   in Loop: Header=BB1_29 Depth=1
	buffer_load_dword v1, off, s[84:87], 0 offset:136 ; 4-byte Folded Reload
	buffer_load_dword v10, off, s[84:87], 0 offset:132 ; 4-byte Folded Reload
.LBB1_230:                              ;   in Loop: Header=BB1_29 Depth=1
	s_or_b64 exec, exec, s[26:27]
                                        ; implicit-def: $vgpr0
.LBB1_231:                              ;   in Loop: Header=BB1_29 Depth=1
	s_andn2_saveexec_b64 s[20:21], s[20:21]
	s_cbranch_execz .LBB1_235
; %bb.232:                              ;   in Loop: Header=BB1_29 Depth=1
	v_cmp_lt_i32_e32 vcc, 4, v0
	s_and_saveexec_b64 s[26:27], vcc
	s_xor_b64 s[26:27], exec, s[26:27]
	s_or_saveexec_b64 s[26:27], s[26:27]
	s_waitcnt vmcnt(1)
	v_add_f32_e32 v1, -1.0, v24
	s_waitcnt vmcnt(0)
	v_mov_b32_e32 v10, v21
	s_xor_b64 exec, exec, s[26:27]
	s_cbranch_execz .LBB1_234
; %bb.233:                              ;   in Loop: Header=BB1_29 Depth=1
	buffer_load_dword v1, off, s[84:87], 0 offset:252 ; 4-byte Folded Reload
	buffer_load_dword v10, off, s[84:87], 0 offset:248 ; 4-byte Folded Reload
.LBB1_234:                              ;   in Loop: Header=BB1_29 Depth=1
	s_or_b64 exec, exec, s[26:27]
.LBB1_235:                              ;   in Loop: Header=BB1_29 Depth=1
	s_or_b64 exec, exec, s[20:21]
                                        ; implicit-def: $vgpr0
                                        ; implicit-def: $vgpr25
                                        ; implicit-def: $vgpr15
.LBB1_236:                              ;   in Loop: Header=BB1_29 Depth=1
	s_andn2_saveexec_b64 s[18:19], s[18:19]
	s_cbranch_execz .LBB1_25
; %bb.237:                              ;   in Loop: Header=BB1_29 Depth=1
	v_cmp_lt_i32_e32 vcc, 1, v0
                                        ; implicit-def: $vgpr1
                                        ; implicit-def: $vgpr10
	s_and_saveexec_b64 s[20:21], vcc
	s_xor_b64 s[20:21], exec, s[20:21]
	s_cbranch_execz .LBB1_241
; %bb.238:                              ;   in Loop: Header=BB1_29 Depth=1
	v_cmp_lt_i32_e32 vcc, 2, v0
	s_and_saveexec_b64 s[26:27], vcc
	s_xor_b64 s[26:27], exec, s[26:27]
	s_or_saveexec_b64 s[26:27], s[26:27]
	s_waitcnt vmcnt(1)
	v_mov_b32_e32 v1, v28
	s_waitcnt vmcnt(0)
	v_mov_b32_e32 v10, v52
	s_xor_b64 exec, exec, s[26:27]
	s_cbranch_execz .LBB1_240
; %bb.239:                              ;   in Loop: Header=BB1_29 Depth=1
	buffer_load_dword v1, off, s[84:87], 0 offset:260 ; 4-byte Folded Reload
	buffer_load_dword v10, off, s[84:87], 0 offset:256 ; 4-byte Folded Reload
.LBB1_240:                              ;   in Loop: Header=BB1_29 Depth=1
	s_or_b64 exec, exec, s[26:27]
                                        ; implicit-def: $vgpr25
                                        ; implicit-def: $vgpr15
                                        ; implicit-def: $vgpr0
.LBB1_241:                              ;   in Loop: Header=BB1_29 Depth=1
	s_andn2_saveexec_b64 s[20:21], s[20:21]
	s_cbranch_execz .LBB1_24
; %bb.242:                              ;   in Loop: Header=BB1_29 Depth=1
	v_cmp_lt_i32_e32 vcc, 0, v0
	s_and_saveexec_b64 s[26:27], vcc
	s_xor_b64 s[26:27], exec, s[26:27]
; %bb.243:                              ;   in Loop: Header=BB1_29 Depth=1
                                        ; implicit-def: $vgpr25
                                        ; implicit-def: $vgpr15
                                        ; implicit-def: $vgpr0
; %bb.244:                              ;   in Loop: Header=BB1_29 Depth=1
	s_or_saveexec_b64 s[26:27], s[26:27]
	buffer_load_dword v1, off, s[84:87], 0 offset:8 ; 4-byte Folded Reload
	buffer_load_dword v10, off, s[84:87], 0 offset:20 ; 4-byte Folded Reload
	s_xor_b64 exec, exec, s[26:27]
	s_cbranch_execz .LBB1_23
; %bb.245:                              ;   in Loop: Header=BB1_29 Depth=1
	v_cmp_eq_u32_e32 vcc, 0, v0
	s_and_saveexec_b64 s[28:29], vcc
	s_cbranch_execz .LBB1_22
; %bb.246:                              ;   in Loop: Header=BB1_29 Depth=1
	s_waitcnt vmcnt(3)
	v_mov_b32_e32 v25, v23
	s_waitcnt vmcnt(2)
	v_mov_b32_e32 v15, v22
	s_branch .LBB1_22
.LBB1_247:
	buffer_load_dword v3, off, s[84:87], 0 offset:44 ; 4-byte Folded Reload
	buffer_load_dword v4, off, s[84:87], 0 offset:48 ; 4-byte Folded Reload
	v_mov_b32_e32 v2, s59
	s_waitcnt vmcnt(0)
	v_lshlrev_b64 v[0:1], 2, v[3:4]
	v_add_co_u32_e32 v4, vcc, s58, v0
	v_addc_co_u32_e32 v5, vcc, v2, v1, vcc
	v_mad_u64_u32 v[6:7], s[0:1], v3, 20, v[4:5]
	global_load_dword v8, v[4:5], off offset:800
	global_load_dwordx4 v[0:3], v[6:7], off offset:1360
	global_load_dwordx2 v[10:11], v[6:7], off offset:1376
	s_nop 0
	buffer_load_dword v4, off, s[84:87], 0 offset:24 ; 4-byte Folded Reload
	s_mov_b32 s0, 0.5
	s_waitcnt vmcnt(2)
	v_mul_f32_e32 v1, v13, v1
	s_waitcnt vmcnt(1)
	v_mul_f32_e32 v5, v13, v10
	s_waitcnt vmcnt(0)
	v_cvt_f16_i16_e32 v4, v4
	v_cvt_f32_f16_e32 v4, v4
	v_fmac_f32_e32 v1, v9, v0
	v_fmac_f32_e32 v5, v9, v3
	v_add_f32_e32 v0, v2, v1
	v_add_f32_e32 v4, v8, v4
	v_fma_mixlo_f16 v4, v4, s0, 0
	v_cvt_i16_f16_e32 v2, v4
	buffer_load_dword v3, off, s[84:87], 0 offset:28 ; 4-byte Folded Reload
	buffer_load_dword v4, off, s[84:87], 0 offset:32 ; 4-byte Folded Reload
	v_add_f32_e32 v1, v11, v5
	v_cvt_f16_f32_e32 v0, v0
	v_cvt_f16_f32_e32 v1, v1
	s_mov_b32 s0, 0x5040100
	v_cvt_i16_f16_e32 v0, v0
	v_cvt_i16_f16_e32 v1, v1
	v_perm_b32 v0, v1, v0, s0
	s_waitcnt vmcnt(0)
	global_store_short v[3:4], v2, off
	buffer_load_dword v1, off, s[84:87], 0 offset:36 ; 4-byte Folded Reload
	s_nop 0
	buffer_load_dword v2, off, s[84:87], 0 offset:40 ; 4-byte Folded Reload
	s_waitcnt vmcnt(0)
	global_store_dword v[1:2], v0, off
	s_endpgm
	.section	.rodata,"a",@progbits
	.p2align	6, 0x0
	.amdhsa_kernel _Z14kernel_iterateP15HIP_vector_typeIsLj2EEPsPKtiPKf14ConstMemParams
		.amdhsa_group_segment_fixed_size 0
		.amdhsa_private_segment_fixed_size 288
		.amdhsa_kernarg_size 2224
		.amdhsa_user_sgpr_count 6
		.amdhsa_user_sgpr_private_segment_buffer 1
		.amdhsa_user_sgpr_dispatch_ptr 0
		.amdhsa_user_sgpr_queue_ptr 0
		.amdhsa_user_sgpr_kernarg_segment_ptr 1
		.amdhsa_user_sgpr_dispatch_id 0
		.amdhsa_user_sgpr_flat_scratch_init 0
		.amdhsa_user_sgpr_private_segment_size 0
		.amdhsa_uses_dynamic_stack 0
		.amdhsa_system_sgpr_private_segment_wavefront_offset 1
		.amdhsa_system_sgpr_workgroup_id_x 1
		.amdhsa_system_sgpr_workgroup_id_y 0
		.amdhsa_system_sgpr_workgroup_id_z 0
		.amdhsa_system_sgpr_workgroup_info 0
		.amdhsa_system_vgpr_workitem_id 0
		.amdhsa_next_free_vgpr 64
		.amdhsa_next_free_sgpr 88
		.amdhsa_reserve_vcc 1
		.amdhsa_reserve_flat_scratch 0
		.amdhsa_float_round_mode_32 0
		.amdhsa_float_round_mode_16_64 0
		.amdhsa_float_denorm_mode_32 3
		.amdhsa_float_denorm_mode_16_64 3
		.amdhsa_dx10_clamp 1
		.amdhsa_ieee_mode 1
		.amdhsa_fp16_overflow 0
		.amdhsa_exception_fp_ieee_invalid_op 0
		.amdhsa_exception_fp_denorm_src 0
		.amdhsa_exception_fp_ieee_div_zero 0
		.amdhsa_exception_fp_ieee_overflow 0
		.amdhsa_exception_fp_ieee_underflow 0
		.amdhsa_exception_fp_ieee_inexact 0
		.amdhsa_exception_int_div_zero 0
	.end_amdhsa_kernel
	.text
.Lfunc_end1:
	.size	_Z14kernel_iterateP15HIP_vector_typeIsLj2EEPsPKtiPKf14ConstMemParams, .Lfunc_end1-_Z14kernel_iterateP15HIP_vector_typeIsLj2EEPsPKtiPKf14ConstMemParams
                                        ; -- End function
	.set _Z14kernel_iterateP15HIP_vector_typeIsLj2EEPsPKtiPKf14ConstMemParams.num_vgpr, 64
	.set _Z14kernel_iterateP15HIP_vector_typeIsLj2EEPsPKtiPKf14ConstMemParams.num_agpr, 0
	.set _Z14kernel_iterateP15HIP_vector_typeIsLj2EEPsPKtiPKf14ConstMemParams.numbered_sgpr, 88
	.set _Z14kernel_iterateP15HIP_vector_typeIsLj2EEPsPKtiPKf14ConstMemParams.num_named_barrier, 0
	.set _Z14kernel_iterateP15HIP_vector_typeIsLj2EEPsPKtiPKf14ConstMemParams.private_seg_size, 288
	.set _Z14kernel_iterateP15HIP_vector_typeIsLj2EEPsPKtiPKf14ConstMemParams.uses_vcc, 1
	.set _Z14kernel_iterateP15HIP_vector_typeIsLj2EEPsPKtiPKf14ConstMemParams.uses_flat_scratch, 0
	.set _Z14kernel_iterateP15HIP_vector_typeIsLj2EEPsPKtiPKf14ConstMemParams.has_dyn_sized_stack, 0
	.set _Z14kernel_iterateP15HIP_vector_typeIsLj2EEPsPKtiPKf14ConstMemParams.has_recursion, 0
	.set _Z14kernel_iterateP15HIP_vector_typeIsLj2EEPsPKtiPKf14ConstMemParams.has_indirect_call, 0
	.section	.AMDGPU.csdata,"",@progbits
; Kernel info:
; codeLenInByte = 36680
; TotalNumSgprs: 92
; NumVgprs: 64
; ScratchSize: 288
; MemoryBound: 0
; FloatMode: 240
; IeeeMode: 1
; LDSByteSize: 0 bytes/workgroup (compile time only)
; SGPRBlocks: 11
; VGPRBlocks: 15
; NumSGPRsForWavesPerEU: 92
; NumVGPRsForWavesPerEU: 64
; Occupancy: 4
; WaveLimiterHint : 1
; COMPUTE_PGM_RSRC2:SCRATCH_EN: 1
; COMPUTE_PGM_RSRC2:USER_SGPR: 6
; COMPUTE_PGM_RSRC2:TRAP_HANDLER: 0
; COMPUTE_PGM_RSRC2:TGID_X_EN: 1
; COMPUTE_PGM_RSRC2:TGID_Y_EN: 0
; COMPUTE_PGM_RSRC2:TGID_Z_EN: 0
; COMPUTE_PGM_RSRC2:TIDIG_COMP_CNT: 0
	.text
	.protected	_Z22kernel_generate_pointsP15HIP_vector_typeIfLj3EEPS_IsLj2EEPsPKtiPKf14ConstMemParams ; -- Begin function _Z22kernel_generate_pointsP15HIP_vector_typeIfLj3EEPS_IsLj2EEPsPKtiPKf14ConstMemParams
	.globl	_Z22kernel_generate_pointsP15HIP_vector_typeIfLj3EEPS_IsLj2EEPsPKtiPKf14ConstMemParams
	.p2align	8
	.type	_Z22kernel_generate_pointsP15HIP_vector_typeIfLj3EEPS_IsLj2EEPsPKtiPKf14ConstMemParams,@function
_Z22kernel_generate_pointsP15HIP_vector_typeIfLj3EEPS_IsLj2EEPsPKtiPKf14ConstMemParams: ; @_Z22kernel_generate_pointsP15HIP_vector_typeIfLj3EEPS_IsLj2EEPsPKtiPKf14ConstMemParams
; %bb.0:
	s_mov_b64 s[98:99], s[2:3]
	s_mov_b64 s[96:97], s[0:1]
	s_load_dword s2, s[4:5], 0x7c4
	s_load_dword s3, s[4:5], 0x790
	s_load_dwordx2 s[66:67], s[4:5], 0x760
	s_add_u32 s96, s96, s7
	s_addc_u32 s97, s97, 0
	s_add_u32 s0, s4, 48
	s_addc_u32 s1, s5, 0
	s_waitcnt lgkmcnt(0)
	s_and_b32 s2, s2, 0xffff
	s_mul_i32 s6, s6, s2
	v_add_u32_e32 v8, s6, v0
	v_and_b32_e32 v0, 0xffffffe0, v8
	v_cmp_gt_i32_e32 vcc, s3, v0
	v_cndmask_b32_e64 v2, 15, 5, vcc
	v_lshlrev_b32_e32 v3, 2, v2
	global_load_dword v3, v3, s[0:1] offset:1848
	v_cndmask_b32_e64 v1, 11, 0, vcc
	v_cndmask_b32_e64 v4, 20, 10, vcc
	v_add_u32_e32 v5, 1, v2
	v_mov_b32_e32 v7, s1
                                        ; implicit-def: $vgpr63 : SGPR spill to VGPR lane
	s_mov_b32 s6, 0x55555556
	s_movk_i32 s7, 0xab
	s_movk_i32 s8, 0xffdc
	s_load_dwordx8 s[68:75], s[4:5], 0x0
	s_mov_b32 s77, 0
	s_mov_b32 s78, 0x40490fdb
	s_brev_b32 s80, -2
	s_movk_i32 s81, 0x204
	s_brev_b32 s82, 18
	s_mov_b32 s83, 0xfe5163ab
	s_mov_b32 s84, 0x3c439041
	;; [unrolled: 1-line block ×10, first 2 shown]
	s_movk_i32 s93, 0x1f8
	s_mov_b32 s94, 0x3f317218
	s_mov_b32 s95, 0x3fb8aa3b
	;; [unrolled: 1-line block ×4, first 2 shown]
	v_mov_b32_e32 v58, 0x7fc00000
	v_not_b32_e32 v13, 31
	s_waitcnt vmcnt(0)
	v_cmp_gt_i32_e32 vcc, v3, v0
	v_cndmask_b32_e32 v1, v5, v1, vcc
	v_cndmask_b32_e32 v2, v4, v2, vcc
	v_add_u16_e32 v3, v1, v2
	v_lshrrev_b16_e32 v3, 1, v3
	v_lshlrev_b32_e32 v4, 2, v3
	global_load_dword v4, v4, s[0:1] offset:1848
	v_add_u32_e32 v5, 1, v3
	s_waitcnt vmcnt(0)
	v_cmp_gt_i32_e32 vcc, v4, v0
	v_cndmask_b32_e32 v1, v5, v1, vcc
	v_cndmask_b32_e32 v2, v2, v3, vcc
	v_add_u32_e32 v3, v1, v2
	v_lshrrev_b32_e32 v3, 1, v3
	v_lshlrev_b32_e32 v4, 2, v3
	global_load_dword v4, v4, s[0:1] offset:1848
	v_add_u32_e32 v5, 1, v3
	s_waitcnt vmcnt(0)
	v_cmp_gt_i32_e32 vcc, v4, v0
	v_cndmask_b32_e32 v5, v5, v1, vcc
	v_cndmask_b32_e32 v6, v2, v3, vcc
	v_add_co_u32_e32 v1, vcc, v5, v6
	v_addc_co_u32_e64 v2, s[2:3], 0, 0, vcc
	v_lshrrev_b64 v[3:4], 1, v[1:2]
	v_alignbit_b32 v1, v2, v1, 1
	v_lshlrev_b64 v[3:4], 2, v[3:4]
	v_add_u32_e32 v2, 1, v1
	v_add_co_u32_e32 v3, vcc, s0, v3
	v_addc_co_u32_e32 v4, vcc, v7, v4, vcc
	global_load_dword v3, v[3:4], off offset:1848
	s_mov_b32 s2, 0x42b17218
	s_mov_b32 s3, 0x3f2aaaab
	s_waitcnt vmcnt(0)
	v_cmp_gt_i32_e32 vcc, v3, v0
	v_cndmask_b32_e32 v0, v2, v5, vcc
	v_cndmask_b32_e32 v1, v6, v1, vcc
	v_add_u32_e32 v0, v0, v1
	v_lshrrev_b32_e32 v4, 1, v0
	v_mad_u64_u32 v[14:15], s[0:1], v4, 24, s[0:1]
	global_load_dwordx4 v[9:12], v[14:15], off offset:880
	global_load_dwordx2 v[6:7], v[14:15], off offset:896
	s_load_dword s0, s[4:5], 0x20
	v_and_b32_e32 v1, 0x3fffff, v8
	v_lshl_add_u32 v2, s66, 7, v8
	v_mul_hi_i32 v3, v8, s6
	v_lshlrev_b32_e32 v1, 2, v1
	s_waitcnt lgkmcnt(0)
	v_writelane_b32 v63, s0, 0
	s_load_dwordx2 s[0:1], s[4:5], 0x28
	v_and_b32_e32 v2, 0x3fffff, v2
	v_mov_b32_e32 v5, 0
	s_mov_b32 s66, 0
	s_waitcnt lgkmcnt(0)
	v_mov_b32_e32 v0, s1
	v_add_co_u32_e32 v55, vcc, s0, v1
	v_addc_co_u32_e32 v56, vcc, 0, v0, vcc
	v_lshlrev_b32_e32 v1, 2, v2
	v_add_co_u32_e32 v1, vcc, s0, v1
	v_addc_co_u32_e32 v2, vcc, 0, v0, vcc
	v_lshrrev_b32_e32 v0, 31, v3
	v_add_u32_e32 v0, v3, v0
	v_lshl_add_u32 v0, v0, 1, v0
	buffer_store_dword v1, off, s[96:99], 0 offset:344 ; 4-byte Folded Spill
	s_nop 0
	buffer_store_dword v2, off, s[96:99], 0 offset:348 ; 4-byte Folded Spill
	v_sub_u32_e32 v0, v8, v0
	buffer_store_dword v0, off, s[96:99], 0 offset:352 ; 4-byte Folded Spill
	v_lshlrev_b64 v[0:1], 4, v[4:5]
	v_mul_lo_u16_sdwa v2, v4, s7 dst_sel:DWORD dst_unused:UNUSED_PAD src0_sel:BYTE_0 src1_sel:DWORD
	v_add_co_u32_e32 v14, vcc, v14, v0
	v_mad_u64_u32 v[16:17], s[0:1], v4, 20, 0
	v_addc_co_u32_e32 v15, vcc, v15, v1, vcc
	v_lshrrev_b16_e32 v2, 9, v2
	v_mad_i64_i32 v[0:1], s[0:1], v4, s8, v[14:15]
	v_mul_lo_u16_e32 v2, 3, v2
	v_sub_u16_e32 v2, v4, v2
	buffer_store_dword v16, off, s[96:99], 0 offset:288 ; 4-byte Folded Spill
	s_nop 0
	buffer_store_dword v17, off, s[96:99], 0 offset:292 ; 4-byte Folded Spill
	buffer_store_dword v2, off, s[96:99], 0 offset:356 ; 4-byte Folded Spill
	buffer_store_dword v0, off, s[96:99], 0 offset:296 ; 4-byte Folded Spill
	s_nop 0
	buffer_store_dword v1, off, s[96:99], 0 offset:300 ; 4-byte Folded Spill
	s_waitcnt vmcnt(9)
	v_mul_f32_e32 v1, v11, v11
	s_waitcnt vmcnt(8)
	v_mul_f32_e32 v2, v7, v7
	buffer_store_dword v2, off, s[96:99], 0 offset:304 ; 4-byte Folded Spill
	v_mov_b32_e32 v2, v7
	buffer_store_dword v2, off, s[96:99], 0 offset:308 ; 4-byte Folded Spill
	v_mov_b32_e32 v2, v11
	;; [unrolled: 2-line block ×4, first 2 shown]
	buffer_store_dword v1, off, s[96:99], 0 offset:188 ; 4-byte Folded Spill
	buffer_store_dword v2, off, s[96:99], 0 offset:320 ; 4-byte Folded Spill
	buffer_store_dword v6, off, s[96:99], 0 offset:280 ; 4-byte Folded Spill
	s_nop 0
	buffer_store_dword v7, off, s[96:99], 0 offset:284 ; 4-byte Folded Spill
	v_add_f32_e32 v1, v11, v11
	v_mul_f32_e32 v0, 0x40490fdb, v11
	v_mov_b32_e32 v2, v6
	buffer_store_dword v2, off, s[96:99], 0 offset:324 ; 4-byte Folded Spill
	v_mov_b32_e32 v2, v9
	buffer_store_dword v2, off, s[96:99], 0 offset:328 ; 4-byte Folded Spill
	v_mov_b32_e32 v2, v10
	v_mov_b32_e32 v3, v11
	buffer_store_dword v1, off, s[96:99], 0 offset:264 ; 4-byte Folded Spill
	s_nop 0
	buffer_store_dword v2, off, s[96:99], 0 offset:268 ; 4-byte Folded Spill
	buffer_store_dword v3, off, s[96:99], 0 offset:272 ; 4-byte Folded Spill
	;; [unrolled: 1-line block ×3, first 2 shown]
	v_mul_f32_e32 v6, v11, v0
	v_mul_f32_e32 v2, 0.5, v6
	buffer_store_dword v2, off, s[96:99], 0 offset:236 ; 4-byte Folded Spill
	v_cmp_eq_f32_e64 s[0:1], 0, v6
	v_writelane_b32 v63, s0, 1
	v_writelane_b32 v63, s1, 2
	v_frexp_mant_f32_e64 v4, |v6|
	v_cmp_o_f32_e64 s[0:1], v6, v6
	buffer_store_dword v6, off, s[96:99], 0 offset:332 ; 4-byte Folded Spill
	v_ldexp_f32 v59, v4, 1
	v_mul_f32_e32 v7, v11, v1
	v_cvt_f64_f32_e64 v[0:1], |v6|
	v_cvt_f64_f32_e64 v[2:3], |v7|
	v_cmp_eq_f32_e64 s[4:5], 0, v7
	v_frexp_mant_f32_e64 v6, |v7|
	v_frexp_exp_i32_f64_e32 v0, v[0:1]
	v_writelane_b32 v63, s4, 3
	v_writelane_b32 v63, s5, 4
	v_cmp_o_f32_e64 s[6:7], v7, v7
	v_ldexp_f32 v53, v6, 1
	buffer_store_dword v7, off, s[96:99], 0 offset:336 ; 4-byte Folded Spill
	v_rcp_f32_e32 v6, v59
	v_rcp_f32_e32 v50, v53
	buffer_store_dword v0, off, s[96:99], 0 offset:248 ; 4-byte Folded Spill
	v_frexp_exp_i32_f64_e32 v0, v[2:3]
	buffer_store_dword v0, off, s[96:99], 0 offset:240 ; 4-byte Folded Spill
	buffer_store_dword v8, off, s[96:99], 0 offset:260 ; 4-byte Folded Spill
	;; [unrolled: 1-line block ×3, first 2 shown]
	s_nop 0
	buffer_store_dword v56, off, s[96:99], 0 offset:184 ; 4-byte Folded Spill
	buffer_store_dword v59, off, s[96:99], 0 offset:340 ; 4-byte Folded Spill
	;; [unrolled: 1-line block ×4, first 2 shown]
	buffer_store_dword v50, off, s[96:99], 0 ; 4-byte Folded Spill
	s_branch .LBB2_2
.LBB2_1:                                ;   in Loop: Header=BB2_2 Depth=1
	buffer_load_dword v0, off, s[96:99], 0 offset:24 ; 4-byte Folded Reload
	buffer_load_dword v2, off, s[96:99], 0 offset:296 ; 4-byte Folded Reload
	buffer_load_dword v3, off, s[96:99], 0 offset:300 ; 4-byte Folded Reload
	s_waitcnt vmcnt(2)
	v_cvt_f16_i16_e32 v0, v0
	s_waitcnt vmcnt(0)
	global_load_dword v1, v[2:3], off offset:800
	v_cvt_f32_f16_e32 v0, v0
	s_waitcnt vmcnt(0)
	v_add_f32_e32 v0, v1, v0
	v_mul_f32_e32 v4, 0.5, v0
	buffer_load_dword v0, off, s[96:99], 0 offset:288 ; 4-byte Folded Reload
	buffer_load_dword v1, off, s[96:99], 0 offset:292 ; 4-byte Folded Reload
	s_waitcnt vmcnt(1)
	v_add_co_u32_e32 v0, vcc, v2, v0
	s_waitcnt vmcnt(0)
	v_addc_co_u32_e32 v1, vcc, v3, v1, vcc
	global_load_dwordx2 v[6:7], v[0:1], off offset:1376
	s_nop 0
	global_load_dwordx4 v[0:3], v[0:1], off offset:1360
	s_waitcnt vmcnt(0)
	v_mul_f32_e32 v1, v9, v1
	buffer_load_dword v8, off, s[96:99], 0 offset:260 ; 4-byte Folded Reload
	v_fmac_f32_e32 v1, v26, v0
	v_mul_f32_e32 v0, v9, v6
	buffer_load_dword v6, off, s[96:99], 0 offset:244 ; 4-byte Folded Reload
	v_fmac_f32_e32 v0, v26, v3
	v_add_f32_e32 v3, v7, v0
	v_add_f32_e32 v2, v2, v1
	s_waitcnt vmcnt(1)
	v_lshl_add_u32 v0, s66, 14, v8
	v_mad_i64_i32 v[0:1], s[4:5], v0, 12, s[68:69]
	s_add_i32 s66, s66, 1
	s_cmp_eq_u32 s66, 64
	global_store_dwordx3 v[0:1], v[2:4], off
	s_cbranch_scc1 .LBB2_252
.LBB2_2:                                ; =>This Loop Header: Depth=1
                                        ;     Child Loop BB2_34 Depth 2
                                        ;       Child Loop BB2_154 Depth 3
                                        ;       Child Loop BB2_167 Depth 3
	v_readlane_b32 s4, v63, 0
	s_add_i32 s4, s66, s4
	s_ashr_i32 s5, s4, 31
	s_lshr_b32 s5, s5, 21
	s_add_i32 s5, s4, s5
	s_and_b32 s5, s5, 0x3f800
	s_sub_i32 s4, s4, s5
	v_lshl_add_u32 v0, s4, 14, v8
	v_ashrrev_i32_e32 v1, 31, v0
	v_lshlrev_b64 v[0:1], 1, v[0:1]
	v_mov_b32_e32 v2, s75
	v_add_co_u32_e32 v0, vcc, s74, v0
	v_addc_co_u32_e32 v1, vcc, v2, v1, vcc
	global_load_ushort v0, v[0:1], off
	s_cmp_lt_i32 s67, 2
	s_mov_b64 s[8:9], -1
                                        ; implicit-def: $vgpr18_vgpr19
	s_waitcnt vmcnt(0)
	v_lshlrev_b32_e32 v1, 2, v0
	v_lshlrev_b32_e32 v0, 1, v0
	global_load_dword v1, v1, s[70:71]
	s_nop 0
	global_load_ushort v0, v0, s[72:73]
	s_waitcnt vmcnt(0)
	buffer_store_dword v0, off, s[96:99], 0 offset:24 ; 4-byte Folded Spill
	v_cvt_f16_i16_sdwa v0, v1 dst_sel:DWORD dst_unused:UNUSED_PAD src0_sel:WORD_1
	v_cvt_f16_i16_e32 v1, v1
	v_cvt_f32_f16_e32 v3, v1
	v_cvt_f32_f16_e32 v4, v0
	s_cbranch_scc1 .LBB2_14
; %bb.3:                                ;   in Loop: Header=BB2_2 Depth=1
	v_mov_b32_e32 v19, v4
	s_cmp_eq_u32 s67, 2
	v_mov_b32_e32 v18, v3
	s_cbranch_scc0 .LBB2_13
; %bb.4:                                ;   in Loop: Header=BB2_2 Depth=1
	buffer_load_dword v1, off, s[96:99], 0 offset:356 ; 4-byte Folded Reload
	v_mov_b32_e32 v0, 1
	v_mul_f32_e32 v19, 0.5, v4
	v_mul_f32_e32 v18, 0.5, v3
	s_waitcnt vmcnt(0)
	v_cmp_gt_i16_sdwa s[8:9], v1, v0 src0_sel:BYTE_0 src1_sel:DWORD
	s_and_saveexec_b64 s[10:11], s[8:9]
	s_xor_b64 s[8:9], exec, s[10:11]
	s_cbranch_execz .LBB2_8
; %bb.5:                                ;   in Loop: Header=BB2_2 Depth=1
	buffer_load_dword v1, off, s[96:99], 0 offset:356 ; 4-byte Folded Reload
	v_mov_b32_e32 v0, 2
	s_waitcnt vmcnt(0)
	v_cmp_eq_u16_sdwa s[12:13], v1, v0 src0_sel:BYTE_0 src1_sel:DWORD
	s_and_saveexec_b64 s[10:11], s[12:13]
; %bb.6:                                ;   in Loop: Header=BB2_2 Depth=1
	v_add_f32_e32 v19, 0.5, v19
; %bb.7:                                ;   in Loop: Header=BB2_2 Depth=1
	s_or_b64 exec, exec, s[10:11]
.LBB2_8:                                ;   in Loop: Header=BB2_2 Depth=1
	s_andn2_saveexec_b64 s[8:9], s[8:9]
	s_cbranch_execz .LBB2_12
; %bb.9:                                ;   in Loop: Header=BB2_2 Depth=1
	buffer_load_dword v1, off, s[96:99], 0 offset:356 ; 4-byte Folded Reload
	v_mov_b32_e32 v0, 1
	s_waitcnt vmcnt(0)
	v_cmp_eq_u16_sdwa s[12:13], v1, v0 src0_sel:BYTE_0 src1_sel:DWORD
	s_and_saveexec_b64 s[10:11], s[12:13]
; %bb.10:                               ;   in Loop: Header=BB2_2 Depth=1
	v_add_f32_e32 v18, 0.5, v18
; %bb.11:                               ;   in Loop: Header=BB2_2 Depth=1
	s_or_b64 exec, exec, s[10:11]
.LBB2_12:                               ;   in Loop: Header=BB2_2 Depth=1
	s_or_b64 exec, exec, s[8:9]
.LBB2_13:                               ;   in Loop: Header=BB2_2 Depth=1
	s_mov_b64 s[8:9], 0
.LBB2_14:                               ;   in Loop: Header=BB2_2 Depth=1
	s_andn2_b64 vcc, exec, s[8:9]
	s_cbranch_vccnz .LBB2_26
; %bb.15:                               ;   in Loop: Header=BB2_2 Depth=1
	s_cmp_lg_u32 s67, 1
	s_cbranch_scc1 .LBB2_25
; %bb.16:                               ;   in Loop: Header=BB2_2 Depth=1
	buffer_load_dword v0, off, s[96:99], 0 offset:352 ; 4-byte Folded Reload
	v_mul_f32_e32 v4, 0.5, v4
	v_mul_f32_e32 v3, 0.5, v3
	s_waitcnt vmcnt(0)
	v_cmp_lt_i32_e32 vcc, 1, v0
	s_and_saveexec_b64 s[8:9], vcc
	s_xor_b64 s[8:9], exec, s[8:9]
	s_cbranch_execz .LBB2_20
; %bb.17:                               ;   in Loop: Header=BB2_2 Depth=1
	buffer_load_dword v0, off, s[96:99], 0 offset:352 ; 4-byte Folded Reload
	s_waitcnt vmcnt(0)
	v_cmp_eq_u32_e32 vcc, 2, v0
	s_and_saveexec_b64 s[10:11], vcc
; %bb.18:                               ;   in Loop: Header=BB2_2 Depth=1
	v_add_f32_e32 v4, 0.5, v4
; %bb.19:                               ;   in Loop: Header=BB2_2 Depth=1
	s_or_b64 exec, exec, s[10:11]
.LBB2_20:                               ;   in Loop: Header=BB2_2 Depth=1
	s_andn2_saveexec_b64 s[8:9], s[8:9]
	s_cbranch_execz .LBB2_24
; %bb.21:                               ;   in Loop: Header=BB2_2 Depth=1
	buffer_load_dword v0, off, s[96:99], 0 offset:352 ; 4-byte Folded Reload
	s_waitcnt vmcnt(0)
	v_cmp_eq_u32_e32 vcc, 1, v0
	s_and_saveexec_b64 s[10:11], vcc
; %bb.22:                               ;   in Loop: Header=BB2_2 Depth=1
	v_add_f32_e32 v3, 0.5, v3
; %bb.23:                               ;   in Loop: Header=BB2_2 Depth=1
	s_or_b64 exec, exec, s[10:11]
.LBB2_24:                               ;   in Loop: Header=BB2_2 Depth=1
	s_or_b64 exec, exec, s[8:9]
.LBB2_25:                               ;   in Loop: Header=BB2_2 Depth=1
	v_mov_b32_e32 v19, v4
	v_mov_b32_e32 v18, v3
.LBB2_26:                               ;   in Loop: Header=BB2_2 Depth=1
	buffer_load_dword v1, off, s[96:99], 0 offset:328 ; 4-byte Folded Reload
	buffer_load_dword v2, off, s[96:99], 0 offset:320 ; 4-byte Folded Reload
	;; [unrolled: 1-line block ×3, first 2 shown]
	s_mov_b32 s5, 0xf800000
	v_mov_b32_e32 v23, 0x260
	v_not_b32_e32 v35, 63
	s_mov_b32 s4, 0xbf317218
	v_mov_b32_e32 v60, 0x7f800000
	s_mov_b32 s76, 0
	s_waitcnt vmcnt(2)
	v_mul_f32_e32 v1, v18, v1
	s_waitcnt vmcnt(1)
	v_fmac_f32_e32 v1, v19, v2
	buffer_load_dword v2, off, s[96:99], 0 offset:316 ; 4-byte Folded Reload
	s_waitcnt vmcnt(1)
	v_mul_f32_e32 v0, v19, v0
	v_not_b32_e32 v19, 63
	s_waitcnt vmcnt(0)
	v_fmac_f32_e32 v0, v18, v2
	buffer_load_dword v2, off, s[96:99], 0 offset:308 ; 4-byte Folded Reload
	s_waitcnt vmcnt(0)
	v_add_f32_e32 v54, v2, v0
	buffer_load_dword v0, off, s[96:99], 0 offset:312 ; 4-byte Folded Reload
	v_and_b32_e32 v62, 0x7fffffff, v54
	v_mul_f32_e32 v42, 0x40490fdb, v54
	v_and_b32_e32 v40, 0x7fffffff, v42
	v_mul_f32_e32 v31, 0x40400000, v54
	v_and_b32_e32 v28, 0x7fffffff, v31
	v_cmp_lt_f32_e64 s[50:51], |v42|, s82
	v_cmp_class_f32_e64 s[54:55], v42, s93
	s_waitcnt vmcnt(0)
	v_add_f32_e32 v41, v0, v1
	v_mul_f32_e32 v1, v41, v41
	v_fma_f32 v12, v54, v54, v1
	v_cmp_gt_f32_e32 vcc, s5, v12
	v_mul_f32_e32 v0, 0x4f800000, v12
	v_cndmask_b32_e32 v0, v12, v0, vcc
	v_sqrt_f32_e32 v2, v0
	v_cmp_class_f32_e64 s[10:11], v41, s81
	v_fma_f32 v1, -v54, v54, v1
	v_mul_f32_e32 v27, 0x40490fdb, v41
	v_add_u32_e32 v3, -1, v2
	v_fma_f32 v4, -v3, v2, v0
	v_cmp_ge_f32_e64 s[8:9], 0, v4
	v_add_u32_e32 v4, 1, v2
	v_cndmask_b32_e64 v3, v2, v3, s[8:9]
	v_fma_f32 v2, -v4, v2, v0
	v_cmp_lt_f32_e64 s[8:9], 0, v2
	v_cndmask_b32_e64 v2, v3, v4, s[8:9]
	v_mul_f32_e32 v3, 0x37800000, v2
	v_cndmask_b32_e32 v2, v2, v3, vcc
	v_cmp_class_f32_e32 vcc, v0, v23
	v_cndmask_b32_e32 v36, v2, v0, vcc
	v_div_scale_f32 v0, s[8:9], v36, v36, 1.0
	v_cmp_gt_i32_e64 s[8:9], 0, v54
	v_and_b32_e32 v26, 0x7fffffff, v27
	v_mul_f32_e32 v30, 0x40400000, v41
	v_and_b32_e32 v29, 0x7fffffff, v30
	v_mul_f32_e32 v59, 0x40490fdb, v36
	v_add_f32_e32 v37, v41, v41
	v_cmp_lt_f32_e64 s[38:39], |v27|, s82
	v_cmp_class_f32_e64 s[42:43], v27, s93
	v_rcp_f32_e32 v2, v0
	v_fma_f32 v3, -v0, v2, 1.0
	v_fmac_f32_e32 v2, v3, v2
	v_div_scale_f32 v3, vcc, 1.0, v36, 1.0
	v_mul_f32_e32 v4, v3, v2
	v_fma_f32 v6, -v0, v4, v3
	v_fmac_f32_e32 v4, v6, v2
	v_fma_f32 v0, -v0, v4, v3
	v_div_fmas_f32 v0, v0, v2, v4
	v_max_f32_e64 v2, |v54|, |v41|
	v_frexp_exp_i32_f32_e32 v3, v2
	v_frexp_mant_f32_e32 v2, v2
	v_rcp_f32_e32 v2, v2
	v_cmp_gt_f32_e64 vcc, |v41|, |v54|
	v_and_b32_e32 v6, 0x7fffffff, v41
	v_div_fixup_f32 v55, v0, v36, 1.0
	v_min_f32_e64 v0, |v54|, |v41|
	v_frexp_exp_i32_f32_e32 v4, v0
	v_frexp_mant_f32_e32 v0, v0
	v_mul_f32_e32 v0, v0, v2
	v_sub_u32_e32 v2, v4, v3
	v_ldexp_f32 v0, v0, v2
	v_mul_f32_e32 v2, v0, v0
	v_mov_b32_e32 v3, 0xbc7a590c
	v_fmac_f32_e32 v3, 0x3b2d2a58, v2
	v_mov_b32_e32 v4, 0x3d29fb3f
	v_fma_f32 v3, v2, v3, v4
	v_mov_b32_e32 v4, 0xbd97d4d7
	v_fma_f32 v3, v2, v3, v4
	;; [unrolled: 2-line block ×6, first 2 shown]
	v_mul_f32_e32 v2, v2, v3
	v_fmac_f32_e32 v0, v0, v2
	v_sub_f32_e32 v2, 0x3fc90fdb, v0
	v_cndmask_b32_e32 v0, v0, v2, vcc
	v_sub_f32_e32 v2, 0x40490fdb, v0
	v_cmp_gt_f32_e32 vcc, 0, v54
	v_cndmask_b32_e32 v0, v0, v2, vcc
	v_mov_b32_e32 v2, 0x40490fdb
	v_cndmask_b32_e64 v2, 0, v2, s[8:9]
	v_cmp_eq_f32_e64 s[8:9], 0, v41
	v_cndmask_b32_e64 v0, v0, v2, s[8:9]
	v_mov_b32_e32 v2, 0x3f490fdb
	v_mov_b32_e32 v3, 0x4016cbe4
	v_cmp_class_f32_e64 s[8:9], v54, s81
	v_cndmask_b32_e32 v2, v2, v3, vcc
	s_and_b64 vcc, s[10:11], s[8:9]
	v_cndmask_b32_e32 v0, v0, v2, vcc
	v_lshrrev_b32_e32 v2, 23, v6
	v_cmp_o_f32_e32 vcc, v54, v41
	v_add_u32_e32 v2, 0xffffff88, v2
	v_cndmask_b32_e32 v0, v58, v0, vcc
	v_cmp_lt_u32_e32 vcc, 63, v2
	v_not_b32_e32 v3, 63
	v_cndmask_b32_e32 v3, 0, v3, vcc
	v_add_u32_e32 v2, v3, v2
	v_cmp_lt_u32_e64 s[10:11], 31, v2
	v_cndmask_b32_e64 v3, 0, v13, s[10:11]
	v_add_u32_e32 v2, v3, v2
	v_cmp_lt_u32_e64 s[12:13], 31, v2
	v_cndmask_b32_e64 v3, 0, v13, s[12:13]
	v_add_u32_e32 v2, v3, v2
	v_and_b32_e32 v3, 0x7fffff, v6
	v_or_b32_e32 v16, 0x800000, v3
	v_mad_u64_u32 v[3:4], s[16:17], v16, s83, 0
	v_cmp_eq_u32_e64 s[14:15], 0, v2
	v_sub_u32_e32 v2, 32, v2
	v_mad_u64_u32 v[6:7], s[16:17], v16, s84, v[4:5]
	v_and_b32_e32 v45, 0x7fffffff, v0
	v_bfi_b32 v20, s80, v0, v41
	v_mov_b32_e32 v4, v7
	v_mad_u64_u32 v[7:8], s[16:17], v16, s85, v[4:5]
	v_cmp_lt_f32_e64 s[22:23], |v0|, s82
	v_cmp_class_f32_e64 s[30:31], v0, s93
	v_mov_b32_e32 v4, v8
	v_mad_u64_u32 v[8:9], s[16:17], v16, s86, v[4:5]
	v_cndmask_b32_e32 v3, v7, v3, vcc
	v_sub_f32_e32 v57, v20, v36
	v_mov_b32_e32 v4, v9
	v_mad_u64_u32 v[9:10], s[16:17], v16, s87, v[4:5]
	v_cndmask_b32_e32 v6, v8, v6, vcc
	v_cndmask_b32_e64 v3, v6, v3, s[10:11]
	v_mov_b32_e32 v4, v10
	v_mad_u64_u32 v[10:11], s[16:17], v16, s88, v[4:5]
	v_cmp_lt_f32_e64 s[8:9], |v41|, s82
	v_mov_b32_e32 v4, v11
	v_mad_u64_u32 v[16:17], s[16:17], v16, s89, v[4:5]
	v_cndmask_b32_e32 v18, v10, v8, vcc
	v_cndmask_b32_e32 v4, v16, v9, vcc
	;; [unrolled: 1-line block ×4, first 2 shown]
	v_cndmask_b32_e64 v11, v4, v18, s[10:11]
	v_cndmask_b32_e64 v4, v10, v4, s[10:11]
	;; [unrolled: 1-line block ×6, first 2 shown]
	v_alignbit_b32 v16, v4, v11, v2
	v_cndmask_b32_e64 v9, v10, v8, s[12:13]
	v_cndmask_b32_e64 v4, v16, v4, s[14:15]
	v_alignbit_b32 v10, v11, v9, v2
	v_cndmask_b32_e64 v10, v10, v11, s[14:15]
	v_bfe_u32 v17, v4, 29, 1
	v_alignbit_b32 v11, v4, v10, 30
	v_sub_u32_e32 v18, 0, v17
	v_cndmask_b32_e64 v3, v8, v3, s[12:13]
	v_xor_b32_e32 v11, v11, v18
	v_alignbit_b32 v2, v9, v3, v2
	v_cndmask_b32_e64 v2, v2, v9, s[14:15]
	v_ffbh_u32_e32 v7, v11
	v_alignbit_b32 v6, v10, v2, 30
	v_min_u32_e32 v7, 32, v7
	v_alignbit_b32 v2, v2, v3, 30
	v_xor_b32_e32 v6, v6, v18
	v_sub_u32_e32 v8, 31, v7
	v_xor_b32_e32 v2, v2, v18
	v_alignbit_b32 v9, v11, v6, v8
	v_alignbit_b32 v2, v6, v2, v8
	;; [unrolled: 1-line block ×3, first 2 shown]
	v_ffbh_u32_e32 v6, v3
	v_min_u32_e32 v6, 32, v6
	v_lshrrev_b32_e32 v16, 29, v4
	v_not_b32_e32 v8, v6
	v_alignbit_b32 v2, v3, v2, v8
	v_lshlrev_b32_e32 v3, 31, v16
	v_or_b32_e32 v8, 0x33000000, v3
	v_add_lshl_u32 v6, v6, v7, 23
	v_lshrrev_b32_e32 v2, 9, v2
	v_sub_u32_e32 v6, v8, v6
	v_or_b32_e32 v3, 0.5, v3
	v_lshlrev_b32_e32 v7, 23, v7
	v_or_b32_e32 v2, v6, v2
	v_lshrrev_b32_e32 v6, 9, v9
	v_sub_u32_e32 v3, v3, v7
	v_or_b32_e32 v3, v6, v3
	v_mul_f32_e32 v6, 0x3fc90fda, v3
	v_fma_f32 v7, v3, s90, -v6
	v_fmac_f32_e32 v7, 0x33a22168, v3
	v_fmac_f32_e32 v7, 0x3fc90fda, v2
	v_lshrrev_b32_e32 v2, 30, v4
	v_add_u32_e32 v2, v17, v2
	buffer_store_dword v2, off, s[96:99], 0 offset:8 ; 4-byte Folded Spill
	v_mul_f32_e64 v2, |v41|, s91
	v_rndne_f32_e32 v2, v2
	v_fma_f32 v25, v2, s92, |v41|
	v_fmac_f32_e32 v25, 0xb3a22168, v2
	v_fmac_f32_e32 v25, 0xa7c234c4, v2
	v_cvt_i32_f32_e32 v2, v2
	v_add_f32_e32 v58, v6, v7
	v_cmp_class_f32_e64 s[10:11], v41, s93
	v_cmp_lt_f32_e64 s[12:13], |v54|, s82
	buffer_store_dword v2, off, s[96:99], 0 offset:20 ; 4-byte Folded Spill
	v_lshrrev_b32_e32 v2, 23, v62
	v_add_u32_e32 v2, 0xffffff88, v2
	v_cmp_lt_u32_e32 vcc, 63, v2
	v_cndmask_b32_e32 v3, 0, v19, vcc
	v_add_u32_e32 v2, v3, v2
	v_cmp_lt_u32_e64 s[14:15], 31, v2
	v_cndmask_b32_e64 v3, 0, v13, s[14:15]
	v_add_u32_e32 v2, v3, v2
	v_cmp_lt_u32_e64 s[16:17], 31, v2
	v_cndmask_b32_e64 v3, 0, v13, s[16:17]
	v_add_u32_e32 v2, v3, v2
	v_and_b32_e32 v3, 0x7fffff, v62
	v_or_b32_e32 v11, 0x800000, v3
	v_mad_u64_u32 v[3:4], s[20:21], v11, s83, 0
	v_cmp_eq_u32_e64 s[18:19], 0, v2
	v_mad_u64_u32 v[6:7], s[20:21], v11, s84, v[4:5]
	v_mov_b32_e32 v4, v7
	v_mad_u64_u32 v[18:19], s[20:21], v11, s85, v[4:5]
	v_mov_b32_e32 v4, v19
	v_mad_u64_u32 v[7:8], s[20:21], v11, s86, v[4:5]
	v_cndmask_b32_e32 v3, v18, v3, vcc
	v_mov_b32_e32 v4, v8
	v_mad_u64_u32 v[8:9], s[20:21], v11, s87, v[4:5]
	v_cndmask_b32_e32 v6, v7, v6, vcc
	v_cndmask_b32_e64 v3, v6, v3, s[14:15]
	v_mov_b32_e32 v4, v9
	v_mad_u64_u32 v[9:10], s[20:21], v11, s88, v[4:5]
	v_mov_b32_e32 v4, v10
	v_mad_u64_u32 v[10:11], s[20:21], v11, s89, v[4:5]
	v_cndmask_b32_e32 v16, v9, v7, vcc
	v_cndmask_b32_e32 v4, v10, v8, vcc
	;; [unrolled: 1-line block ×4, first 2 shown]
	v_cndmask_b32_e64 v10, v4, v16, s[14:15]
	v_cndmask_b32_e64 v4, v9, v4, s[14:15]
	;; [unrolled: 1-line block ×5, first 2 shown]
	v_sub_u32_e32 v4, 32, v2
	v_cndmask_b32_e64 v7, v8, v6, s[14:15]
	v_alignbit_b32 v2, v9, v10, v4
	v_cndmask_b32_e64 v8, v11, v7, s[16:17]
	v_cndmask_b32_e64 v2, v2, v9, s[18:19]
	v_alignbit_b32 v9, v10, v8, v4
	v_cndmask_b32_e64 v9, v9, v10, s[18:19]
	v_bfe_u32 v16, v2, 29, 1
	v_alignbit_b32 v10, v2, v9, 30
	v_sub_u32_e32 v17, 0, v16
	v_cndmask_b32_e64 v3, v7, v3, s[16:17]
	v_xor_b32_e32 v10, v10, v17
	v_alignbit_b32 v4, v8, v3, v4
	v_cndmask_b32_e64 v4, v4, v8, s[18:19]
	v_ffbh_u32_e32 v7, v10
	v_alignbit_b32 v6, v9, v4, 30
	v_min_u32_e32 v7, 32, v7
	v_alignbit_b32 v3, v4, v3, 30
	v_xor_b32_e32 v6, v6, v17
	v_sub_u32_e32 v8, 31, v7
	v_xor_b32_e32 v3, v3, v17
	v_alignbit_b32 v9, v10, v6, v8
	v_alignbit_b32 v3, v6, v3, v8
	;; [unrolled: 1-line block ×3, first 2 shown]
	v_ffbh_u32_e32 v6, v4
	v_min_u32_e32 v6, 32, v6
	v_lshrrev_b32_e32 v11, 29, v2
	v_not_b32_e32 v8, v6
	v_alignbit_b32 v3, v4, v3, v8
	v_lshlrev_b32_e32 v4, 31, v11
	v_or_b32_e32 v8, 0x33000000, v4
	v_add_lshl_u32 v6, v6, v7, 23
	v_lshrrev_b32_e32 v3, 9, v3
	v_sub_u32_e32 v6, v8, v6
	v_or_b32_e32 v4, 0.5, v4
	v_lshlrev_b32_e32 v7, 23, v7
	v_or_b32_e32 v3, v6, v3
	v_lshrrev_b32_e32 v6, 9, v9
	v_sub_u32_e32 v4, v4, v7
	v_or_b32_e32 v4, v6, v4
	v_mul_f32_e32 v6, 0x3fc90fda, v4
	v_fma_f32 v7, v4, s90, -v6
	v_fmac_f32_e32 v7, 0x33a22168, v4
	v_fmac_f32_e32 v7, 0x3fc90fda, v3
	v_add_f32_e32 v3, v6, v7
	v_lshrrev_b32_e32 v2, 30, v2
	buffer_store_dword v3, off, s[96:99], 0 offset:36 ; 4-byte Folded Spill
	v_add_u32_e32 v3, v16, v2
	v_add_u32_e32 v2, v11, v2
	buffer_store_dword v2, off, s[96:99], 0 offset:32 ; 4-byte Folded Spill
	v_div_scale_f32 v2, s[16:17], v1, v1, 1.0
	buffer_store_dword v3, off, s[96:99], 0 offset:40 ; 4-byte Folded Spill
	v_mul_f32_e64 v3, |v54|, s91
	v_rndne_f32_e32 v3, v3
	v_fma_f32 v32, v3, s92, |v54|
	v_fmac_f32_e32 v32, 0xb3a22168, v3
	v_fmac_f32_e32 v32, 0xa7c234c4, v3
	v_cvt_i32_f32_e32 v3, v3
	v_cmp_class_f32_e64 s[14:15], v54, s93
	buffer_store_dword v3, off, s[96:99], 0 offset:44 ; 4-byte Folded Spill
	v_rcp_f32_e32 v3, v2
	v_fma_f32 v4, -v2, v3, 1.0
	v_fmac_f32_e32 v3, v4, v3
	v_div_scale_f32 v4, vcc, 1.0, v1, 1.0
	v_mul_f32_e32 v6, v4, v3
	v_fma_f32 v7, -v2, v6, v4
	v_fmac_f32_e32 v6, v7, v3
	v_fma_f32 v2, -v2, v6, v4
	v_div_fmas_f32 v2, v2, v3, v6
	v_div_fixup_f32 v1, v2, v1, 1.0
	v_mul_f32_e64 v2, v41, |v1|
	v_mul_f32_e64 v1, v54, |v1|
	buffer_store_dword v1, off, s[96:99], 0 offset:256 ; 4-byte Folded Spill
	v_fma_f32 v1, v36, v36, 4.0
	buffer_store_dword v2, off, s[96:99], 0 offset:252 ; 4-byte Folded Spill
	v_div_scale_f32 v2, s[16:17], v1, v1, 4.0
	v_rcp_f32_e32 v3, v2
	v_fma_f32 v4, -v2, v3, 1.0
	v_fmac_f32_e32 v3, v4, v3
	v_div_scale_f32 v4, vcc, 4.0, v1, 4.0
	v_mul_f32_e32 v6, v4, v3
	v_fma_f32 v7, -v2, v6, v4
	v_fmac_f32_e32 v6, v7, v3
	v_fma_f32 v2, -v2, v6, v4
	v_div_fmas_f32 v2, v2, v3, v6
	v_div_fixup_f32 v1, v2, v1, 4.0
	v_mul_f32_e32 v2, v41, v1
	v_mul_f32_e32 v1, v54, v1
	buffer_store_dword v1, off, s[96:99], 0 offset:196 ; 4-byte Folded Spill
	v_add_f32_e32 v1, 1.0, v36
	buffer_store_dword v2, off, s[96:99], 0 offset:192 ; 4-byte Folded Spill
	v_div_scale_f32 v2, s[16:17], v1, v1, 2.0
	v_rcp_f32_e32 v3, v2
	v_fma_f32 v4, -v2, v3, 1.0
	v_fmac_f32_e32 v3, v4, v3
	v_div_scale_f32 v4, vcc, 2.0, v1, 2.0
	v_mul_f32_e32 v6, v4, v3
	v_fma_f32 v7, -v2, v6, v4
	v_fmac_f32_e32 v6, v7, v3
	v_fma_f32 v2, -v2, v6, v4
	v_div_fmas_f32 v2, v2, v3, v6
	v_div_fixup_f32 v1, v2, v1, 2.0
	v_mul_f32_e32 v2, v41, v1
	v_mul_f32_e32 v1, v54, v1
	buffer_store_dword v1, off, s[96:99], 0 offset:16 ; 4-byte Folded Spill
	v_lshrrev_b32_e32 v1, 23, v45
	v_add_u32_e32 v1, 0xffffff88, v1
	v_cmp_lt_u32_e32 vcc, 63, v1
	buffer_store_dword v2, off, s[96:99], 0 offset:12 ; 4-byte Folded Spill
	v_cndmask_b32_e32 v2, 0, v35, vcc
	v_add_u32_e32 v1, v2, v1
	v_cmp_lt_u32_e64 s[16:17], 31, v1
	v_cndmask_b32_e64 v2, 0, v13, s[16:17]
	v_add_u32_e32 v1, v2, v1
	v_cmp_lt_u32_e64 s[18:19], 31, v1
	v_cndmask_b32_e64 v2, 0, v13, s[18:19]
	v_add_u32_e32 v11, v2, v1
	v_and_b32_e32 v1, 0x7fffff, v45
	v_or_b32_e32 v10, 0x800000, v1
	v_mad_u64_u32 v[3:4], s[24:25], v10, s83, 0
	v_cmp_eq_u32_e64 s[20:21], 0, v11
	v_mad_u64_u32 v[6:7], s[24:25], v10, s84, v[4:5]
	v_mov_b32_e32 v4, v7
	v_mad_u64_u32 v[18:19], s[24:25], v10, s85, v[4:5]
	v_mov_b32_e32 v4, v19
	v_mad_u64_u32 v[7:8], s[24:25], v10, s86, v[4:5]
	v_cndmask_b32_e32 v3, v18, v3, vcc
	v_mov_b32_e32 v4, v8
	v_mad_u64_u32 v[1:2], s[24:25], v10, s87, v[4:5]
	v_mov_b32_e32 v4, v2
	v_mad_u64_u32 v[8:9], s[24:25], v10, s88, v[4:5]
	;; [unrolled: 2-line block ×3, first 2 shown]
	v_cndmask_b32_e32 v2, v8, v7, vcc
	v_cndmask_b32_e32 v4, v9, v1, vcc
	v_cndmask_b32_e32 v8, v10, v8, vcc
	v_cndmask_b32_e64 v9, v4, v2, s[16:17]
	v_cndmask_b32_e64 v4, v8, v4, s[16:17]
	v_cndmask_b32_e32 v8, v1, v18, vcc
	v_cndmask_b32_e64 v10, v2, v8, s[16:17]
	v_cndmask_b32_e64 v4, v4, v9, s[18:19]
	v_cndmask_b32_e64 v9, v9, v10, s[18:19]
	v_sub_u32_e32 v2, 32, v11
	v_alignbit_b32 v1, v4, v9, v2
	v_cndmask_b32_e64 v1, v1, v4, s[20:21]
	v_cndmask_b32_e32 v4, v7, v6, vcc
	v_cndmask_b32_e64 v6, v8, v4, s[16:17]
	v_cndmask_b32_e64 v7, v10, v6, s[18:19]
	v_alignbit_b32 v8, v9, v7, v2
	v_cndmask_b32_e64 v8, v8, v9, s[20:21]
	v_bfe_u32 v11, v1, 29, 1
	v_cndmask_b32_e64 v3, v4, v3, s[16:17]
	v_alignbit_b32 v9, v1, v8, 30
	v_sub_u32_e32 v16, 0, v11
	v_cndmask_b32_e64 v3, v6, v3, s[18:19]
	v_xor_b32_e32 v9, v9, v16
	v_alignbit_b32 v2, v7, v3, v2
	v_cndmask_b32_e64 v2, v2, v7, s[20:21]
	v_ffbh_u32_e32 v6, v9
	v_alignbit_b32 v4, v8, v2, 30
	v_min_u32_e32 v6, 32, v6
	v_alignbit_b32 v2, v2, v3, 30
	v_xor_b32_e32 v4, v4, v16
	v_sub_u32_e32 v7, 31, v6
	v_xor_b32_e32 v2, v2, v16
	v_alignbit_b32 v8, v9, v4, v7
	v_alignbit_b32 v2, v4, v2, v7
	;; [unrolled: 1-line block ×3, first 2 shown]
	v_ffbh_u32_e32 v4, v3
	v_min_u32_e32 v4, 32, v4
	v_lshrrev_b32_e32 v10, 29, v1
	v_not_b32_e32 v7, v4
	v_lshrrev_b32_e32 v1, 30, v1
	v_alignbit_b32 v2, v3, v2, v7
	v_lshlrev_b32_e32 v3, 31, v10
	v_add_u32_e32 v1, v11, v1
	v_or_b32_e32 v7, 0x33000000, v3
	v_add_lshl_u32 v4, v4, v6, 23
	buffer_store_dword v1, off, s[96:99], 0 offset:88 ; 4-byte Folded Spill
	v_mul_f32_e64 v1, |v0|, s91
	v_lshrrev_b32_e32 v2, 9, v2
	v_sub_u32_e32 v4, v7, v4
	v_rndne_f32_e32 v1, v1
	v_or_b32_e32 v2, v4, v2
	v_lshrrev_b32_e32 v4, 9, v8
	v_fma_f32 v8, v1, s92, |v0|
	v_fmac_f32_e32 v8, 0xb3a22168, v1
	v_fmac_f32_e32 v8, 0xa7c234c4, v1
	v_cvt_i32_f32_e32 v1, v1
	v_lshrrev_b32_e32 v0, 23, v26
	v_add_u32_e32 v0, 0xffffff88, v0
	v_cmp_lt_u32_e32 vcc, 63, v0
	buffer_store_dword v1, off, s[96:99], 0 offset:92 ; 4-byte Folded Spill
	v_cndmask_b32_e32 v1, 0, v35, vcc
	v_add_u32_e32 v0, v1, v0
	v_or_b32_e32 v3, 0.5, v3
	v_lshlrev_b32_e32 v6, 23, v6
	v_cmp_lt_u32_e64 s[16:17], 31, v0
	v_sub_u32_e32 v3, v3, v6
	v_cndmask_b32_e64 v1, 0, v13, s[16:17]
	v_or_b32_e32 v3, v4, v3
	v_add_u32_e32 v0, v1, v0
	v_mul_f32_e32 v4, 0x3fc90fda, v3
	v_cmp_lt_u32_e64 s[18:19], 31, v0
	v_fma_f32 v6, v3, s90, -v4
	v_cndmask_b32_e64 v1, 0, v13, s[18:19]
	v_fmac_f32_e32 v6, 0x33a22168, v3
	v_add_u32_e32 v0, v1, v0
	v_and_b32_e32 v1, 0x7fffff, v26
	v_fmac_f32_e32 v6, 0x3fc90fda, v2
	v_or_b32_e32 v1, 0x800000, v1
	v_add_f32_e32 v2, v4, v6
	v_mad_u64_u32 v[3:4], s[24:25], v1, s83, 0
	buffer_store_dword v2, off, s[96:99], 0 offset:84 ; 4-byte Folded Spill
	v_cmp_eq_u32_e64 s[20:21], 0, v0
	v_mad_u64_u32 v[6:7], s[24:25], v1, s84, v[4:5]
	v_mov_b32_e32 v4, v7
	v_mad_u64_u32 v[18:19], s[24:25], v1, s85, v[4:5]
	v_mov_b32_e32 v4, v19
	v_mad_u64_u32 v[9:10], s[24:25], v1, s86, v[4:5]
	v_cndmask_b32_e32 v3, v18, v3, vcc
	v_mov_b32_e32 v4, v10
	v_mad_u64_u32 v[10:11], s[24:25], v1, s87, v[4:5]
	v_mov_b32_e32 v4, v11
	v_mad_u64_u32 v[16:17], s[24:25], v1, s88, v[4:5]
	;; [unrolled: 2-line block ×3, first 2 shown]
	v_cndmask_b32_e32 v2, v16, v9, vcc
	v_cndmask_b32_e32 v1, v21, v10, vcc
	;; [unrolled: 1-line block ×3, first 2 shown]
	v_cndmask_b32_e64 v4, v1, v2, s[16:17]
	v_cndmask_b32_e64 v1, v7, v1, s[16:17]
	v_cndmask_b32_e32 v7, v10, v18, vcc
	v_cndmask_b32_e64 v2, v2, v7, s[16:17]
	v_cndmask_b32_e64 v1, v1, v4, s[18:19]
	;; [unrolled: 1-line block ×3, first 2 shown]
	v_sub_u32_e32 v4, 32, v0
	v_alignbit_b32 v0, v1, v10, v4
	v_cndmask_b32_e64 v0, v0, v1, s[20:21]
	v_cndmask_b32_e32 v1, v9, v6, vcc
	v_cndmask_b32_e64 v6, v7, v1, s[16:17]
	v_cndmask_b32_e64 v2, v2, v6, s[18:19]
	v_alignbit_b32 v7, v10, v2, v4
	v_cndmask_b32_e64 v7, v7, v10, s[20:21]
	v_bfe_u32 v11, v0, 29, 1
	v_cndmask_b32_e64 v1, v1, v3, s[16:17]
	v_alignbit_b32 v9, v0, v7, 30
	v_sub_u32_e32 v16, 0, v11
	v_cndmask_b32_e64 v1, v6, v1, s[18:19]
	v_xor_b32_e32 v9, v9, v16
	v_alignbit_b32 v3, v2, v1, v4
	v_cndmask_b32_e64 v2, v3, v2, s[20:21]
	v_ffbh_u32_e32 v4, v9
	v_alignbit_b32 v3, v7, v2, 30
	v_min_u32_e32 v4, 32, v4
	v_alignbit_b32 v1, v2, v1, 30
	v_xor_b32_e32 v3, v3, v16
	v_sub_u32_e32 v6, 31, v4
	v_xor_b32_e32 v1, v1, v16
	v_alignbit_b32 v7, v9, v3, v6
	v_alignbit_b32 v1, v3, v1, v6
	;; [unrolled: 1-line block ×3, first 2 shown]
	v_ffbh_u32_e32 v3, v2
	v_min_u32_e32 v3, 32, v3
	v_lshrrev_b32_e32 v10, 29, v0
	v_not_b32_e32 v6, v3
	v_lshrrev_b32_e32 v0, 30, v0
	v_alignbit_b32 v1, v2, v1, v6
	v_lshlrev_b32_e32 v2, 31, v10
	v_add_u32_e32 v0, v11, v0
	v_or_b32_e32 v6, 0x33000000, v2
	v_add_lshl_u32 v3, v3, v4, 23
	buffer_store_dword v0, off, s[96:99], 0 offset:116 ; 4-byte Folded Spill
	v_mul_f32_e64 v0, |v27|, s91
	v_lshrrev_b32_e32 v1, 9, v1
	v_sub_u32_e32 v3, v6, v3
	v_or_b32_e32 v2, 0.5, v2
	v_lshlrev_b32_e32 v4, 23, v4
	v_rndne_f32_e32 v0, v0
	v_or_b32_e32 v1, v3, v1
	v_lshrrev_b32_e32 v3, 9, v7
	v_sub_u32_e32 v2, v2, v4
	v_fma_f32 v53, v0, s92, |v27|
	v_or_b32_e32 v2, v3, v2
	v_fmac_f32_e32 v53, 0xb3a22168, v0
	v_mul_f32_e32 v3, 0x3fc90fda, v2
	v_fmac_f32_e32 v53, 0xa7c234c4, v0
	v_cvt_i32_f32_e32 v0, v0
	v_fma_f32 v4, v2, s90, -v3
	v_fmac_f32_e32 v4, 0x33a22168, v2
	v_fmac_f32_e32 v4, 0x3fc90fda, v1
	v_add_f32_e32 v1, v3, v4
	buffer_store_dword v0, off, s[96:99], 0 offset:120 ; 4-byte Folded Spill
	v_add_f32_e64 v0, |v54|, s4
	buffer_store_dword v1, off, s[96:99], 0 offset:112 ; 4-byte Folded Spill
	v_sub_f32_e64 v1, v0, |v54|
	v_sub_f32_e32 v2, v1, v0
	v_add_f32_e64 v2, |v54|, v2
	v_add_f32_e32 v1, 0x3f317218, v1
	v_sub_f32_e32 v1, v2, v1
	v_add_f32_e32 v1, 0x3102e308, v1
	v_add_f32_e32 v2, v0, v1
	v_sub_f32_e32 v0, v0, v2
	v_add_f32_e32 v0, v1, v0
	v_mul_f32_e32 v1, 0x3fb8aa3b, v2
	v_rndne_f32_e32 v1, v1
	v_fmac_f32_e32 v2, 0xbf317200, v1
	v_add_f32_e32 v3, v0, v2
	v_sub_f32_e32 v2, v2, v3
	v_add_f32_e32 v0, v0, v2
	v_mul_f32_e32 v2, 0x35bfbc00, v1
	v_sub_f32_e32 v4, v3, v2
	v_sub_f32_e32 v3, v3, v4
	;; [unrolled: 1-line block ×3, first 2 shown]
	v_add_f32_e32 v0, v0, v2
	v_add_f32_e32 v2, v4, v0
	v_sub_f32_e32 v3, v4, v2
	v_add_f32_e32 v0, v0, v3
	v_mul_f32_e32 v3, 0x2ea39ef3, v1
	v_sub_f32_e32 v4, v2, v3
	v_sub_f32_e32 v2, v2, v4
	;; [unrolled: 1-line block ×3, first 2 shown]
	v_add_f32_e32 v0, v0, v2
	v_add_f32_e32 v2, v4, v0
	v_mov_b32_e32 v3, 0x3c091de6
	v_fmac_f32_e32 v3, 0x3ab42872, v2
	v_mov_b32_e32 v6, 0x3d2aadcc
	v_fma_f32 v3, v2, v3, v6
	v_mov_b32_e32 v6, 0x3e2aaa47
	v_fma_f32 v3, v2, v3, v6
	v_mov_b32_e32 v6, 0x3efffffc
	v_sub_f32_e32 v4, v4, v2
	v_fma_f32 v3, v2, v3, v6
	v_add_f32_e32 v0, v0, v4
	v_mul_f32_e32 v6, v2, v2
	v_add_f32_e32 v4, v0, v0
	v_fma_f32 v7, v2, v2, -v6
	v_fmac_f32_e32 v7, v2, v4
	v_add_f32_e32 v4, v6, v7
	v_sub_f32_e32 v6, v4, v6
	v_sub_f32_e32 v6, v7, v6
	v_mul_f32_e32 v7, v3, v4
	v_fma_f32 v4, v4, v3, -v7
	v_fmac_f32_e32 v4, v6, v3
	v_add_f32_e32 v3, v7, v4
	v_sub_f32_e32 v6, v3, v7
	v_sub_f32_e32 v4, v4, v6
	v_add_f32_e32 v6, v2, v3
	v_sub_f32_e32 v2, v6, v2
	v_sub_f32_e32 v2, v3, v2
	v_add_f32_e32 v0, v0, v4
	v_add_f32_e32 v0, v0, v2
	;; [unrolled: 1-line block ×3, first 2 shown]
	v_sub_f32_e32 v3, v2, v6
	v_sub_f32_e32 v0, v0, v3
	v_add_f32_e32 v3, 1.0, v2
	v_add_f32_e32 v4, -1.0, v3
	v_sub_f32_e32 v2, v2, v4
	v_cvt_i32_f32_e32 v1, v1
	v_add_f32_e32 v0, v0, v2
	v_add_f32_e32 v2, v3, v0
	v_sub_f32_e32 v3, v2, v3
	v_sub_f32_e32 v0, v0, v3
	v_ldexp_f32 v2, v2, v1
	v_ldexp_f32 v0, v0, v1
	v_rcp_f32_e32 v1, v2
	s_mov_b32 s4, 0x42b2d4fc
	v_cmp_gt_f32_e64 vcc, |v54|, s4
	s_mov_b32 s4, 0x39800000
	v_mul_f32_e32 v3, v2, v1
	v_fma_f32 v4, v1, v2, -v3
	v_fmac_f32_e32 v4, v1, v0
	v_add_f32_e32 v6, v3, v4
	v_sub_f32_e32 v7, 1.0, v6
	v_sub_f32_e32 v9, 1.0, v7
	v_sub_f32_e32 v3, v6, v3
	v_sub_f32_e32 v9, v9, v6
	;; [unrolled: 1-line block ×3, first 2 shown]
	v_add_f32_e32 v3, v3, v9
	v_add_f32_e32 v4, v7, v3
	v_mul_f32_e32 v6, v1, v4
	v_mul_f32_e32 v9, v2, v6
	v_fma_f32 v10, v6, v2, -v9
	v_fmac_f32_e32 v10, v6, v0
	v_sub_f32_e32 v7, v7, v4
	v_add_f32_e32 v3, v3, v7
	v_add_f32_e32 v7, v9, v10
	v_sub_f32_e32 v11, v4, v7
	v_sub_f32_e32 v4, v4, v11
	;; [unrolled: 1-line block ×4, first 2 shown]
	v_add_f32_e32 v3, v3, v4
	v_sub_f32_e32 v4, v9, v10
	v_add_f32_e32 v3, v4, v3
	v_add_f32_e32 v3, v11, v3
	;; [unrolled: 1-line block ×3, first 2 shown]
	v_mul_f32_e32 v3, v1, v3
	v_sub_f32_e32 v1, v4, v1
	v_sub_f32_e32 v1, v6, v1
	v_add_f32_e32 v1, v1, v3
	v_add_f32_e32 v3, v4, v1
	v_sub_f32_e32 v4, v3, v4
	v_ldexp_f32 v3, v3, -2
	v_sub_f32_e32 v1, v1, v4
	v_add_f32_e32 v4, v2, v3
	v_ldexp_f32 v1, v1, -2
	v_sub_f32_e32 v6, v4, v2
	v_sub_f32_e32 v6, v3, v6
	v_add_f32_e32 v7, v0, v1
	v_add_f32_e32 v6, v7, v6
	;; [unrolled: 1-line block ×3, first 2 shown]
	v_cndmask_b32_e32 v4, v4, v60, vcc
	buffer_store_dword v4, off, s[96:99], 0 offset:132 ; 4-byte Folded Spill
	v_sub_f32_e32 v4, v2, v3
	v_sub_f32_e32 v2, v2, v4
	;; [unrolled: 1-line block ×3, first 2 shown]
	v_add_f32_e32 v0, v0, v2
	v_sub_f32_e32 v0, v0, v1
	v_add_f32_e32 v0, v4, v0
	v_cndmask_b32_e32 v0, v0, v60, vcc
	v_cmp_lt_f32_e64 s[16:17], |v54|, s4
	v_cndmask_b32_e64 v0, v0, |v54|, s[16:17]
	v_bfi_b32 v0, s80, v0, v54
	buffer_store_dword v0, off, s[96:99], 0 offset:140 ; 4-byte Folded Spill
	v_add_f32_e32 v0, -1.0, v41
	v_mul_f32_e32 v1, 0x3fb8aa3b, v0
	v_fma_f32 v2, v0, s95, -v1
	v_rndne_f32_e32 v3, v1
	v_fmac_f32_e32 v2, 0x32a5705f, v0
	v_sub_f32_e32 v1, v1, v3
	v_add_f32_e32 v1, v1, v2
	v_exp_f32_e32 v1, v1
	v_cvt_i32_f32_e32 v2, v3
	v_cmp_ngt_f32_e32 vcc, s33, v0
	v_ldexp_f32 v1, v1, v2
	v_cndmask_b32_e32 v1, 0, v1, vcc
	v_cmp_nlt_f32_e32 vcc, s2, v0
	v_cndmask_b32_e32 v0, v60, v1, vcc
	buffer_store_dword v0, off, s[96:99], 0 offset:108 ; 4-byte Folded Spill
	v_lshrrev_b32_e32 v0, 23, v40
	v_add_u32_e32 v0, 0xffffff88, v0
	v_cmp_lt_u32_e32 vcc, 63, v0
	v_cndmask_b32_e32 v1, 0, v35, vcc
	v_add_u32_e32 v0, v1, v0
	v_cmp_lt_u32_e64 s[16:17], 31, v0
	v_cndmask_b32_e64 v1, 0, v13, s[16:17]
	v_add_u32_e32 v0, v1, v0
	v_cmp_lt_u32_e64 s[18:19], 31, v0
	v_cndmask_b32_e64 v1, 0, v13, s[18:19]
	v_add_u32_e32 v0, v1, v0
	v_and_b32_e32 v1, 0x7fffff, v40
	v_or_b32_e32 v1, 0x800000, v1
	v_mad_u64_u32 v[3:4], s[24:25], v1, s83, 0
	v_cmp_eq_u32_e64 s[20:21], 0, v0
	v_mad_u64_u32 v[9:10], s[24:25], v1, s84, v[4:5]
	v_mov_b32_e32 v4, v10
	v_mad_u64_u32 v[18:19], s[24:25], v1, s85, v[4:5]
	v_mov_b32_e32 v4, v19
	v_mad_u64_u32 v[10:11], s[24:25], v1, s86, v[4:5]
	v_cndmask_b32_e32 v3, v18, v3, vcc
	v_mov_b32_e32 v4, v11
	v_mad_u64_u32 v[6:7], s[24:25], v1, s87, v[4:5]
	v_mov_b32_e32 v4, v7
	v_mad_u64_u32 v[16:17], s[24:25], v1, s88, v[4:5]
	;; [unrolled: 2-line block ×3, first 2 shown]
	v_cndmask_b32_e32 v2, v16, v10, vcc
	v_cmp_lt_f32_e64 s[24:25], |v31|, s82
	v_cndmask_b32_e32 v1, v21, v6, vcc
	v_cndmask_b32_e32 v7, v22, v16, vcc
	v_cndmask_b32_e64 v4, v1, v2, s[16:17]
	v_cndmask_b32_e64 v1, v7, v1, s[16:17]
	v_cndmask_b32_e32 v7, v6, v18, vcc
	v_cndmask_b32_e64 v2, v2, v7, s[16:17]
	v_cndmask_b32_e64 v1, v1, v4, s[18:19]
	;; [unrolled: 1-line block ×3, first 2 shown]
	v_sub_u32_e32 v6, 32, v0
	v_alignbit_b32 v0, v1, v11, v6
	v_cndmask_b32_e64 v4, v0, v1, s[20:21]
	v_cndmask_b32_e32 v0, v10, v9, vcc
	v_cndmask_b32_e64 v1, v7, v0, s[16:17]
	v_cndmask_b32_e64 v2, v2, v1, s[18:19]
	v_alignbit_b32 v7, v11, v2, v6
	v_cndmask_b32_e64 v7, v7, v11, s[20:21]
	v_bfe_u32 v11, v4, 29, 1
	v_cndmask_b32_e64 v0, v0, v3, s[16:17]
	v_alignbit_b32 v9, v4, v7, 30
	v_sub_u32_e32 v16, 0, v11
	v_cndmask_b32_e64 v0, v1, v0, s[18:19]
	v_xor_b32_e32 v9, v9, v16
	v_alignbit_b32 v1, v2, v0, v6
	v_cndmask_b32_e64 v1, v1, v2, s[20:21]
	v_ffbh_u32_e32 v3, v9
	v_alignbit_b32 v2, v7, v1, 30
	v_min_u32_e32 v3, 32, v3
	v_alignbit_b32 v0, v1, v0, 30
	v_xor_b32_e32 v2, v2, v16
	v_sub_u32_e32 v6, 31, v3
	v_xor_b32_e32 v0, v0, v16
	v_alignbit_b32 v7, v9, v2, v6
	v_alignbit_b32 v0, v2, v0, v6
	;; [unrolled: 1-line block ×3, first 2 shown]
	v_ffbh_u32_e32 v2, v1
	v_min_u32_e32 v2, 32, v2
	v_lshrrev_b32_e32 v10, 29, v4
	v_not_b32_e32 v6, v2
	v_alignbit_b32 v0, v1, v0, v6
	v_lshlrev_b32_e32 v1, 31, v10
	v_or_b32_e32 v6, 0x33000000, v1
	v_add_lshl_u32 v2, v2, v3, 23
	v_lshrrev_b32_e32 v0, 9, v0
	v_sub_u32_e32 v2, v6, v2
	v_or_b32_e32 v1, 0.5, v1
	v_lshlrev_b32_e32 v3, 23, v3
	v_or_b32_e32 v0, v2, v0
	v_lshrrev_b32_e32 v2, 9, v7
	v_sub_u32_e32 v1, v1, v3
	v_or_b32_e32 v1, v2, v1
	v_mul_f32_e32 v2, 0x3fc90fda, v1
	v_fma_f32 v3, v1, s90, -v2
	v_fmac_f32_e32 v3, 0x33a22168, v1
	v_fmac_f32_e32 v3, 0x3fc90fda, v0
	v_add_f32_e32 v0, v2, v3
	buffer_store_dword v0, off, s[96:99], 0 offset:156 ; 4-byte Folded Spill
	v_lshrrev_b32_e32 v0, 30, v4
	v_add_u32_e32 v0, v11, v0
	buffer_store_dword v0, off, s[96:99], 0 offset:160 ; 4-byte Folded Spill
	v_mul_f32_e64 v0, |v42|, s91
	v_rndne_f32_e32 v0, v0
	v_fma_f32 v24, v0, s92, |v42|
	v_fmac_f32_e32 v24, 0xb3a22168, v0
	v_fmac_f32_e32 v24, 0xa7c234c4, v0
	v_cvt_i32_f32_e32 v0, v0
	buffer_store_dword v0, off, s[96:99], 0 offset:164 ; 4-byte Folded Spill
	v_lshrrev_b32_e32 v0, 23, v28
	v_add_u32_e32 v0, 0xffffff88, v0
	v_cmp_lt_u32_e32 vcc, 63, v0
	v_cndmask_b32_e32 v1, 0, v35, vcc
	v_add_u32_e32 v0, v1, v0
	v_cmp_lt_u32_e64 s[16:17], 31, v0
	v_cndmask_b32_e64 v1, 0, v13, s[16:17]
	v_add_u32_e32 v0, v1, v0
	v_cmp_lt_u32_e64 s[18:19], 31, v0
	v_cndmask_b32_e64 v1, 0, v13, s[18:19]
	v_add_u32_e32 v0, v1, v0
	v_and_b32_e32 v1, 0x7fffff, v28
	v_or_b32_e32 v1, 0x800000, v1
	v_mad_u64_u32 v[3:4], s[26:27], v1, s83, 0
	v_cmp_eq_u32_e64 s[20:21], 0, v0
	v_mad_u64_u32 v[9:10], s[26:27], v1, s84, v[4:5]
	v_mov_b32_e32 v4, v10
	v_mad_u64_u32 v[18:19], s[26:27], v1, s85, v[4:5]
	v_mov_b32_e32 v4, v19
	v_mad_u64_u32 v[10:11], s[26:27], v1, s86, v[4:5]
	v_cndmask_b32_e32 v3, v18, v3, vcc
	v_mov_b32_e32 v4, v11
	v_mad_u64_u32 v[6:7], s[26:27], v1, s87, v[4:5]
	v_mov_b32_e32 v4, v7
	v_mad_u64_u32 v[16:17], s[26:27], v1, s88, v[4:5]
	;; [unrolled: 2-line block ×3, first 2 shown]
	v_cndmask_b32_e32 v2, v16, v10, vcc
	v_cmp_class_f32_e64 s[26:27], v31, s93
	v_cndmask_b32_e32 v1, v21, v6, vcc
	v_cndmask_b32_e32 v7, v22, v16, vcc
	v_cndmask_b32_e64 v4, v1, v2, s[16:17]
	v_cndmask_b32_e64 v1, v7, v1, s[16:17]
	v_cndmask_b32_e32 v7, v6, v18, vcc
	v_cndmask_b32_e64 v2, v2, v7, s[16:17]
	v_cndmask_b32_e64 v1, v1, v4, s[18:19]
	;; [unrolled: 1-line block ×3, first 2 shown]
	v_sub_u32_e32 v6, 32, v0
	v_alignbit_b32 v0, v1, v11, v6
	v_cndmask_b32_e64 v4, v0, v1, s[20:21]
	v_cndmask_b32_e32 v0, v10, v9, vcc
	v_cndmask_b32_e64 v1, v7, v0, s[16:17]
	v_cndmask_b32_e64 v2, v2, v1, s[18:19]
	v_alignbit_b32 v7, v11, v2, v6
	v_cndmask_b32_e64 v7, v7, v11, s[20:21]
	v_cndmask_b32_e64 v0, v0, v3, s[16:17]
	v_alignbit_b32 v9, v4, v7, 30
	v_bfe_i32 v11, v4, 29, 1
	v_cndmask_b32_e64 v0, v1, v0, s[18:19]
	v_xor_b32_e32 v9, v9, v11
	v_alignbit_b32 v1, v2, v0, v6
	v_cndmask_b32_e64 v1, v1, v2, s[20:21]
	v_ffbh_u32_e32 v3, v9
	v_alignbit_b32 v2, v7, v1, 30
	v_min_u32_e32 v3, 32, v3
	v_alignbit_b32 v0, v1, v0, 30
	v_xor_b32_e32 v2, v2, v11
	v_sub_u32_e32 v6, 31, v3
	v_xor_b32_e32 v0, v0, v11
	v_alignbit_b32 v7, v9, v2, v6
	v_alignbit_b32 v0, v2, v0, v6
	;; [unrolled: 1-line block ×3, first 2 shown]
	v_ffbh_u32_e32 v2, v1
	v_min_u32_e32 v2, 32, v2
	v_lshrrev_b32_e32 v10, 29, v4
	v_not_b32_e32 v6, v2
	v_alignbit_b32 v0, v1, v0, v6
	v_lshlrev_b32_e32 v1, 31, v10
	v_or_b32_e32 v6, 0x33000000, v1
	v_add_lshl_u32 v2, v2, v3, 23
	v_lshrrev_b32_e32 v0, 9, v0
	v_sub_u32_e32 v2, v6, v2
	v_or_b32_e32 v1, 0.5, v1
	v_lshlrev_b32_e32 v3, 23, v3
	v_or_b32_e32 v0, v2, v0
	v_lshrrev_b32_e32 v2, 9, v7
	v_sub_u32_e32 v1, v1, v3
	v_or_b32_e32 v1, v2, v1
	v_mul_f32_e32 v2, 0x3fc90fda, v1
	v_fma_f32 v3, v1, s90, -v2
	v_fmac_f32_e32 v3, 0x33a22168, v1
	v_fmac_f32_e32 v3, 0x3fc90fda, v0
	v_add_f32_e32 v0, v2, v3
	buffer_store_dword v0, off, s[96:99], 0 offset:72 ; 4-byte Folded Spill
	v_lshrrev_b32_e32 v0, 30, v4
	v_add_u32_e32 v0, v10, v0
	buffer_store_dword v0, off, s[96:99], 0 offset:76 ; 4-byte Folded Spill
	v_mul_f32_e64 v0, |v31|, s91
	v_rndne_f32_e32 v0, v0
	v_fma_f32 v6, v0, s92, |v31|
	v_fmac_f32_e32 v6, 0xb3a22168, v0
	v_fmac_f32_e32 v6, 0xa7c234c4, v0
	v_cvt_i32_f32_e32 v0, v0
	v_cmp_lt_f32_e64 s[16:17], |v30|, s82
	buffer_store_dword v0, off, s[96:99], 0 offset:80 ; 4-byte Folded Spill
	v_lshrrev_b32_e32 v0, 23, v29
	v_add_u32_e32 v0, 0xffffff88, v0
	v_cmp_lt_u32_e32 vcc, 63, v0
	v_cndmask_b32_e32 v1, 0, v35, vcc
	v_add_u32_e32 v0, v1, v0
	v_cmp_lt_u32_e64 s[18:19], 31, v0
	v_cndmask_b32_e64 v1, 0, v13, s[18:19]
	v_add_u32_e32 v0, v1, v0
	v_cmp_lt_u32_e64 s[20:21], 31, v0
	v_cndmask_b32_e64 v1, 0, v13, s[20:21]
	v_add_u32_e32 v0, v1, v0
	v_and_b32_e32 v1, 0x7fffff, v29
	v_or_b32_e32 v1, 0x800000, v1
	v_mad_u64_u32 v[3:4], s[34:35], v1, s83, 0
	v_cmp_eq_u32_e64 s[28:29], 0, v0
	v_mad_u64_u32 v[9:10], s[34:35], v1, s84, v[4:5]
	v_mov_b32_e32 v4, v10
	v_mad_u64_u32 v[18:19], s[34:35], v1, s85, v[4:5]
	v_mov_b32_e32 v4, v19
	v_mad_u64_u32 v[10:11], s[34:35], v1, s86, v[4:5]
	v_cndmask_b32_e32 v3, v18, v3, vcc
	v_mov_b32_e32 v4, v11
	v_mad_u64_u32 v[16:17], s[34:35], v1, s87, v[4:5]
	v_mov_b32_e32 v4, v17
	v_mad_u64_u32 v[21:22], s[34:35], v1, s88, v[4:5]
	v_cndmask_b32_e32 v11, v16, v18, vcc
	v_mov_b32_e32 v4, v22
	v_mad_u64_u32 v[38:39], s[34:35], v1, s89, v[4:5]
	v_cndmask_b32_e32 v2, v21, v10, vcc
	v_cndmask_b32_e32 v1, v38, v16, vcc
	;; [unrolled: 1-line block ×3, first 2 shown]
	v_cndmask_b32_e64 v4, v1, v2, s[18:19]
	v_cndmask_b32_e64 v1, v7, v1, s[18:19]
	v_cndmask_b32_e64 v2, v2, v11, s[18:19]
	v_cndmask_b32_e64 v1, v1, v4, s[20:21]
	v_cndmask_b32_e64 v16, v4, v2, s[20:21]
	v_sub_u32_e32 v7, 32, v0
	v_alignbit_b32 v0, v1, v16, v7
	v_cndmask_b32_e64 v4, v0, v1, s[28:29]
	v_cndmask_b32_e32 v0, v10, v9, vcc
	v_cndmask_b32_e64 v1, v11, v0, s[18:19]
	v_cndmask_b32_e64 v2, v2, v1, s[20:21]
	v_alignbit_b32 v9, v16, v2, v7
	v_cndmask_b32_e64 v9, v9, v16, s[28:29]
	v_cndmask_b32_e64 v0, v0, v3, s[18:19]
	v_alignbit_b32 v10, v4, v9, 30
	v_bfe_i32 v16, v4, 29, 1
	v_cndmask_b32_e64 v0, v1, v0, s[20:21]
	v_xor_b32_e32 v10, v10, v16
	v_alignbit_b32 v1, v2, v0, v7
	v_cndmask_b32_e64 v1, v1, v2, s[28:29]
	v_ffbh_u32_e32 v3, v10
	v_alignbit_b32 v2, v9, v1, 30
	v_min_u32_e32 v3, 32, v3
	v_alignbit_b32 v0, v1, v0, 30
	v_xor_b32_e32 v2, v2, v16
	v_sub_u32_e32 v7, 31, v3
	v_xor_b32_e32 v0, v0, v16
	v_alignbit_b32 v9, v10, v2, v7
	v_alignbit_b32 v0, v2, v0, v7
	;; [unrolled: 1-line block ×3, first 2 shown]
	v_ffbh_u32_e32 v2, v1
	v_min_u32_e32 v2, 32, v2
	v_lshrrev_b32_e32 v11, 29, v4
	v_not_b32_e32 v7, v2
	v_alignbit_b32 v0, v1, v0, v7
	v_lshlrev_b32_e32 v1, 31, v11
	v_or_b32_e32 v7, 0x33000000, v1
	v_add_lshl_u32 v2, v2, v3, 23
	v_lshrrev_b32_e32 v0, 9, v0
	v_sub_u32_e32 v2, v7, v2
	v_or_b32_e32 v1, 0.5, v1
	v_lshlrev_b32_e32 v3, 23, v3
	v_or_b32_e32 v0, v2, v0
	v_lshrrev_b32_e32 v2, 9, v9
	v_sub_u32_e32 v1, v1, v3
	v_or_b32_e32 v1, v2, v1
	v_mul_f32_e32 v2, 0x3fc90fda, v1
	v_fma_f32 v3, v1, s90, -v2
	v_fmac_f32_e32 v3, 0x33a22168, v1
	v_fmac_f32_e32 v3, 0x3fc90fda, v0
	v_add_f32_e32 v0, v2, v3
	buffer_store_dword v0, off, s[96:99], 0 offset:48 ; 4-byte Folded Spill
	v_lshrrev_b32_e32 v0, 30, v4
	v_add_u32_e32 v0, v11, v0
	buffer_store_dword v0, off, s[96:99], 0 offset:52 ; 4-byte Folded Spill
	v_mul_f32_e64 v0, |v30|, s91
	v_rndne_f32_e32 v0, v0
	v_fma_f32 v52, v0, s92, |v30|
	v_fmac_f32_e32 v52, 0xb3a22168, v0
	v_fmac_f32_e32 v52, 0xa7c234c4, v0
	v_cvt_i32_f32_e32 v0, v0
	v_cmp_le_f32_e32 vcc, 0, v41
	v_and_b32_e32 v38, 0x7fffffff, v57
	v_cmp_class_f32_e64 s[18:19], v30, s93
	buffer_store_dword v0, off, s[96:99], 0 offset:56 ; 4-byte Folded Spill
	v_cndmask_b32_e64 v0, 0, 2, vcc
	v_cmp_le_f32_e32 vcc, 0, v54
	v_cndmask_b32_e64 v1, 0, 1, vcc
	v_or_b32_e32 v0, v0, v1
	buffer_store_dword v0, off, s[96:99], 0 offset:28 ; 4-byte Folded Spill
	v_cmp_gt_f32_e32 vcc, s5, v36
	v_mul_f32_e32 v0, 0x4f800000, v36
	v_cndmask_b32_e32 v0, v36, v0, vcc
	v_sqrt_f32_e32 v1, v0
	v_not_b32_e32 v39, 31
	v_add_u32_e32 v2, -1, v1
	v_fma_f32 v3, -v2, v1, v0
	v_cmp_ge_f32_e64 s[20:21], 0, v3
	v_add_u32_e32 v3, 1, v1
	v_cndmask_b32_e64 v2, v1, v2, s[20:21]
	v_fma_f32 v1, -v3, v1, v0
	v_cmp_lt_f32_e64 s[20:21], 0, v1
	v_cndmask_b32_e64 v1, v2, v3, s[20:21]
	v_mul_f32_e32 v2, 0x37800000, v1
	v_cndmask_b32_e32 v1, v1, v2, vcc
	v_cmp_class_f32_e32 vcc, v0, v23
	v_cndmask_b32_e32 v0, v1, v0, vcc
	v_add_f32_e32 v23, v36, v20
	buffer_store_dword v0, off, s[96:99], 0 offset:200 ; 4-byte Folded Spill
	v_mul_f32_e32 v0, 0.5, v20
	v_and_b32_e32 v43, 0x7fffffff, v23
	buffer_store_dword v0, off, s[96:99], 0 offset:204 ; 4-byte Folded Spill
	v_lshrrev_b32_e32 v0, 23, v43
	v_add_u32_e32 v0, 0xffffff88, v0
	v_cmp_lt_u32_e32 vcc, 63, v0
	v_cndmask_b32_e32 v1, 0, v35, vcc
	v_add_u32_e32 v0, v1, v0
	v_cmp_lt_u32_e64 s[28:29], 31, v0
	v_cndmask_b32_e64 v1, 0, v13, s[28:29]
	v_add_u32_e32 v0, v1, v0
	v_cmp_lt_u32_e64 s[34:35], 31, v0
	v_cndmask_b32_e64 v1, 0, v13, s[34:35]
	v_add_u32_e32 v0, v1, v0
	v_and_b32_e32 v1, 0x7fffff, v43
	v_or_b32_e32 v1, 0x800000, v1
	v_mad_u64_u32 v[3:4], s[40:41], v1, s83, 0
	v_cmp_eq_u32_e64 s[36:37], 0, v0
	v_cmp_lt_f32_e64 s[20:21], |v23|, s82
	v_mad_u64_u32 v[9:10], s[40:41], v1, s84, v[4:5]
	v_mov_b32_e32 v4, v10
	v_mad_u64_u32 v[18:19], s[40:41], v1, s85, v[4:5]
	v_mov_b32_e32 v4, v19
	v_mad_u64_u32 v[10:11], s[40:41], v1, s86, v[4:5]
	v_cndmask_b32_e32 v3, v18, v3, vcc
	v_mov_b32_e32 v4, v11
	v_mad_u64_u32 v[16:17], s[40:41], v1, s87, v[4:5]
	v_mov_b32_e32 v4, v17
	v_mad_u64_u32 v[21:22], s[40:41], v1, s88, v[4:5]
	v_cndmask_b32_e32 v11, v16, v18, vcc
	v_mov_b32_e32 v4, v22
	v_mad_u64_u32 v[46:47], s[40:41], v1, s89, v[4:5]
	v_cndmask_b32_e32 v2, v21, v10, vcc
	v_cndmask_b32_e32 v1, v46, v16, vcc
	;; [unrolled: 1-line block ×3, first 2 shown]
	v_cndmask_b32_e64 v4, v1, v2, s[28:29]
	v_cndmask_b32_e64 v1, v7, v1, s[28:29]
	;; [unrolled: 1-line block ×5, first 2 shown]
	v_sub_u32_e32 v7, 32, v0
	v_alignbit_b32 v0, v1, v16, v7
	v_cndmask_b32_e64 v4, v0, v1, s[36:37]
	v_cndmask_b32_e32 v0, v10, v9, vcc
	v_cndmask_b32_e64 v1, v11, v0, s[28:29]
	v_cndmask_b32_e64 v2, v2, v1, s[34:35]
	v_alignbit_b32 v9, v16, v2, v7
	v_cndmask_b32_e64 v9, v9, v16, s[36:37]
	v_bfe_u32 v16, v4, 29, 1
	v_cndmask_b32_e64 v0, v0, v3, s[28:29]
	v_alignbit_b32 v10, v4, v9, 30
	v_sub_u32_e32 v17, 0, v16
	v_cndmask_b32_e64 v0, v1, v0, s[34:35]
	v_xor_b32_e32 v10, v10, v17
	v_alignbit_b32 v1, v2, v0, v7
	v_cndmask_b32_e64 v1, v1, v2, s[36:37]
	v_ffbh_u32_e32 v3, v10
	v_alignbit_b32 v2, v9, v1, 30
	v_min_u32_e32 v3, 32, v3
	v_alignbit_b32 v0, v1, v0, 30
	v_xor_b32_e32 v2, v2, v17
	v_sub_u32_e32 v7, 31, v3
	v_xor_b32_e32 v0, v0, v17
	v_alignbit_b32 v9, v10, v2, v7
	v_alignbit_b32 v0, v2, v0, v7
	;; [unrolled: 1-line block ×3, first 2 shown]
	v_ffbh_u32_e32 v2, v1
	v_min_u32_e32 v2, 32, v2
	v_lshrrev_b32_e32 v11, 29, v4
	v_not_b32_e32 v7, v2
	v_alignbit_b32 v0, v1, v0, v7
	v_lshlrev_b32_e32 v1, 31, v11
	v_or_b32_e32 v7, 0x33000000, v1
	v_add_lshl_u32 v2, v2, v3, 23
	v_lshrrev_b32_e32 v0, 9, v0
	v_sub_u32_e32 v2, v7, v2
	v_or_b32_e32 v1, 0.5, v1
	v_lshlrev_b32_e32 v3, 23, v3
	v_or_b32_e32 v0, v2, v0
	v_lshrrev_b32_e32 v2, 9, v9
	v_sub_u32_e32 v1, v1, v3
	v_or_b32_e32 v1, v2, v1
	v_mul_f32_e32 v2, 0x3fc90fda, v1
	v_fma_f32 v3, v1, s90, -v2
	v_fmac_f32_e32 v3, 0x33a22168, v1
	v_fmac_f32_e32 v3, 0x3fc90fda, v0
	v_add_f32_e32 v0, v2, v3
	buffer_store_dword v0, off, s[96:99], 0 offset:60 ; 4-byte Folded Spill
	v_lshrrev_b32_e32 v0, 30, v4
	v_add_u32_e32 v0, v16, v0
	buffer_store_dword v0, off, s[96:99], 0 offset:64 ; 4-byte Folded Spill
	v_mul_f32_e64 v0, |v23|, s91
	v_rndne_f32_e32 v0, v0
	v_fma_f32 v61, v0, s92, |v23|
	v_fmac_f32_e32 v61, 0xb3a22168, v0
	v_fmac_f32_e32 v61, 0xa7c234c4, v0
	v_cvt_i32_f32_e32 v0, v0
	v_cmp_class_f32_e64 s[28:29], v23, s93
	v_cmp_lt_f32_e64 s[34:35], |v57|, s82
	buffer_store_dword v0, off, s[96:99], 0 offset:68 ; 4-byte Folded Spill
	v_lshrrev_b32_e32 v0, 23, v38
	v_add_u32_e32 v0, 0xffffff88, v0
	v_cmp_lt_u32_e32 vcc, 63, v0
	v_cndmask_b32_e32 v1, 0, v35, vcc
	v_add_u32_e32 v0, v1, v0
	v_cmp_lt_u32_e64 s[36:37], 31, v0
	v_cndmask_b32_e64 v1, 0, v13, s[36:37]
	v_add_u32_e32 v0, v1, v0
	v_cmp_lt_u32_e64 s[40:41], 31, v0
	v_cndmask_b32_e64 v1, 0, v13, s[40:41]
	v_add_u32_e32 v0, v1, v0
	v_and_b32_e32 v1, 0x7fffff, v38
	v_or_b32_e32 v1, 0x800000, v1
	v_mad_u64_u32 v[3:4], s[46:47], v1, s83, 0
	v_cmp_eq_u32_e64 s[44:45], 0, v0
	v_mad_u64_u32 v[9:10], s[46:47], v1, s84, v[4:5]
	v_mov_b32_e32 v4, v10
	v_mad_u64_u32 v[18:19], s[46:47], v1, s85, v[4:5]
	v_mov_b32_e32 v4, v19
	v_mad_u64_u32 v[10:11], s[46:47], v1, s86, v[4:5]
	v_cndmask_b32_e32 v3, v18, v3, vcc
	v_mov_b32_e32 v4, v11
	v_mad_u64_u32 v[16:17], s[46:47], v1, s87, v[4:5]
	v_mov_b32_e32 v4, v17
	v_mad_u64_u32 v[21:22], s[46:47], v1, s88, v[4:5]
	v_cndmask_b32_e32 v11, v16, v18, vcc
	v_mov_b32_e32 v4, v22
	v_mad_u64_u32 v[46:47], s[46:47], v1, s89, v[4:5]
	v_cndmask_b32_e32 v2, v21, v10, vcc
	v_cndmask_b32_e32 v1, v46, v16, vcc
	v_cndmask_b32_e32 v7, v47, v21, vcc
	v_cndmask_b32_e64 v4, v1, v2, s[36:37]
	v_cndmask_b32_e64 v1, v7, v1, s[36:37]
	;; [unrolled: 1-line block ×5, first 2 shown]
	v_sub_u32_e32 v7, 32, v0
	v_alignbit_b32 v0, v1, v16, v7
	v_cndmask_b32_e64 v4, v0, v1, s[44:45]
	v_cndmask_b32_e32 v0, v10, v9, vcc
	v_cndmask_b32_e64 v1, v11, v0, s[36:37]
	v_cndmask_b32_e64 v2, v2, v1, s[40:41]
	v_alignbit_b32 v9, v16, v2, v7
	v_cndmask_b32_e64 v9, v9, v16, s[44:45]
	v_bfe_u32 v16, v4, 29, 1
	v_cndmask_b32_e64 v0, v0, v3, s[36:37]
	v_alignbit_b32 v10, v4, v9, 30
	v_sub_u32_e32 v17, 0, v16
	v_cndmask_b32_e64 v0, v1, v0, s[40:41]
	v_xor_b32_e32 v10, v10, v17
	v_alignbit_b32 v1, v2, v0, v7
	v_cndmask_b32_e64 v1, v1, v2, s[44:45]
	v_ffbh_u32_e32 v3, v10
	v_alignbit_b32 v2, v9, v1, 30
	v_min_u32_e32 v3, 32, v3
	v_alignbit_b32 v0, v1, v0, 30
	v_xor_b32_e32 v2, v2, v17
	v_sub_u32_e32 v7, 31, v3
	v_xor_b32_e32 v0, v0, v17
	v_alignbit_b32 v9, v10, v2, v7
	v_alignbit_b32 v0, v2, v0, v7
	;; [unrolled: 1-line block ×3, first 2 shown]
	v_ffbh_u32_e32 v2, v1
	v_min_u32_e32 v2, 32, v2
	v_lshrrev_b32_e32 v11, 29, v4
	v_not_b32_e32 v7, v2
	v_alignbit_b32 v0, v1, v0, v7
	v_lshlrev_b32_e32 v1, 31, v11
	v_or_b32_e32 v7, 0x33000000, v1
	v_add_lshl_u32 v2, v2, v3, 23
	v_lshrrev_b32_e32 v0, 9, v0
	v_sub_u32_e32 v2, v7, v2
	v_or_b32_e32 v1, 0.5, v1
	v_lshlrev_b32_e32 v3, 23, v3
	v_or_b32_e32 v0, v2, v0
	v_lshrrev_b32_e32 v2, 9, v9
	v_sub_u32_e32 v1, v1, v3
	v_or_b32_e32 v1, v2, v1
	v_mul_f32_e32 v2, 0x3fc90fda, v1
	v_fma_f32 v3, v1, s90, -v2
	v_fmac_f32_e32 v3, 0x33a22168, v1
	v_fmac_f32_e32 v3, 0x3fc90fda, v0
	v_add_f32_e32 v0, v2, v3
	buffer_store_dword v0, off, s[96:99], 0 offset:96 ; 4-byte Folded Spill
	v_lshrrev_b32_e32 v0, 30, v4
	v_add_u32_e32 v0, v16, v0
	buffer_store_dword v0, off, s[96:99], 0 offset:100 ; 4-byte Folded Spill
	v_mul_f32_e64 v0, |v57|, s91
	v_rndne_f32_e32 v0, v0
	v_fma_f32 v11, v0, s92, |v57|
	v_fmac_f32_e32 v11, 0xb3a22168, v0
	v_fmac_f32_e32 v11, 0xa7c234c4, v0
	v_cvt_i32_f32_e32 v0, v0
	v_and_b32_e32 v1, 0x7fffffff, v36
	v_mov_b32_e32 v2, v1
	v_cmp_class_f32_e64 s[36:37], v57, s93
	buffer_store_dword v0, off, s[96:99], 0 offset:104 ; 4-byte Folded Spill
	v_lshrrev_b32_e32 v0, 23, v1
	v_add_u32_e32 v0, 0xffffff88, v0
	v_cmp_lt_u32_e32 vcc, 63, v0
	v_cndmask_b32_e32 v1, 0, v35, vcc
	v_add_u32_e32 v0, v1, v0
	v_cmp_lt_u32_e64 s[44:45], 31, v0
	v_cndmask_b32_e64 v1, 0, v13, s[44:45]
	v_add_u32_e32 v0, v1, v0
	v_cmp_lt_u32_e64 s[46:47], 31, v0
	v_cndmask_b32_e64 v1, 0, v13, s[46:47]
	v_add_u32_e32 v0, v1, v0
	v_and_b32_e32 v1, 0x7fffff, v2
	v_or_b32_e32 v1, 0x800000, v1
	v_mad_u64_u32 v[3:4], s[52:53], v1, s83, 0
	v_cmp_eq_u32_e64 s[48:49], 0, v0
	v_cmp_lt_f32_e64 s[40:41], |v36|, s82
	v_mad_u64_u32 v[9:10], s[52:53], v1, s84, v[4:5]
	v_mov_b32_e32 v4, v10
	v_mad_u64_u32 v[18:19], s[52:53], v1, s85, v[4:5]
	v_mov_b32_e32 v4, v19
	v_mad_u64_u32 v[16:17], s[52:53], v1, s86, v[4:5]
	v_cndmask_b32_e32 v3, v18, v3, vcc
	v_mov_b32_e32 v4, v17
	v_mad_u64_u32 v[21:22], s[52:53], v1, s87, v[4:5]
	v_mov_b32_e32 v4, v22
	v_mad_u64_u32 v[46:47], s[52:53], v1, s88, v[4:5]
	v_cndmask_b32_e32 v10, v21, v18, vcc
	v_mov_b32_e32 v4, v47
	v_mad_u64_u32 v[50:51], s[52:53], v1, s89, v[4:5]
	v_cndmask_b32_e32 v2, v46, v16, vcc
	v_cndmask_b32_e32 v1, v50, v21, vcc
	;; [unrolled: 1-line block ×3, first 2 shown]
	v_cndmask_b32_e64 v4, v1, v2, s[44:45]
	v_cndmask_b32_e64 v1, v7, v1, s[44:45]
	;; [unrolled: 1-line block ×5, first 2 shown]
	v_sub_u32_e32 v7, 32, v0
	v_alignbit_b32 v0, v1, v17, v7
	v_cndmask_b32_e64 v4, v0, v1, s[48:49]
	v_cndmask_b32_e32 v0, v16, v9, vcc
	v_cndmask_b32_e64 v1, v10, v0, s[44:45]
	v_cndmask_b32_e64 v2, v2, v1, s[46:47]
	v_alignbit_b32 v9, v17, v2, v7
	v_cndmask_b32_e64 v9, v9, v17, s[48:49]
	v_bfe_u32 v17, v4, 29, 1
	v_cndmask_b32_e64 v0, v0, v3, s[44:45]
	v_alignbit_b32 v10, v4, v9, 30
	v_sub_u32_e32 v19, 0, v17
	v_cndmask_b32_e64 v0, v1, v0, s[46:47]
	v_xor_b32_e32 v10, v10, v19
	v_alignbit_b32 v1, v2, v0, v7
	v_cndmask_b32_e64 v1, v1, v2, s[48:49]
	v_ffbh_u32_e32 v3, v10
	v_alignbit_b32 v2, v9, v1, 30
	v_min_u32_e32 v3, 32, v3
	v_alignbit_b32 v0, v1, v0, 30
	v_xor_b32_e32 v2, v2, v19
	v_sub_u32_e32 v7, 31, v3
	v_xor_b32_e32 v0, v0, v19
	v_alignbit_b32 v9, v10, v2, v7
	v_alignbit_b32 v0, v2, v0, v7
	;; [unrolled: 1-line block ×3, first 2 shown]
	v_ffbh_u32_e32 v2, v1
	v_min_u32_e32 v2, 32, v2
	v_lshrrev_b32_e32 v16, 29, v4
	v_not_b32_e32 v7, v2
	v_alignbit_b32 v0, v1, v0, v7
	v_lshlrev_b32_e32 v1, 31, v16
	v_or_b32_e32 v7, 0x33000000, v1
	v_add_lshl_u32 v2, v2, v3, 23
	v_lshrrev_b32_e32 v0, 9, v0
	v_sub_u32_e32 v2, v7, v2
	v_or_b32_e32 v1, 0.5, v1
	v_lshlrev_b32_e32 v3, 23, v3
	v_or_b32_e32 v0, v2, v0
	v_lshrrev_b32_e32 v2, 9, v9
	v_sub_u32_e32 v1, v1, v3
	v_or_b32_e32 v1, v2, v1
	v_mul_f32_e32 v2, 0x3fc90fda, v1
	v_fma_f32 v3, v1, s90, -v2
	v_fmac_f32_e32 v3, 0x33a22168, v1
	v_fmac_f32_e32 v3, 0x3fc90fda, v0
	v_add_f32_e32 v0, v2, v3
	buffer_store_dword v0, off, s[96:99], 0 offset:124 ; 4-byte Folded Spill
	v_lshrrev_b32_e32 v0, 30, v4
	v_add_u32_e32 v0, v17, v0
	buffer_store_dword v0, off, s[96:99], 0 offset:128 ; 4-byte Folded Spill
	v_mul_f32_e64 v0, |v36|, s91
	v_rndne_f32_e32 v0, v0
	v_fma_f32 v30, v0, s92, |v36|
	v_fmac_f32_e32 v30, 0xb3a22168, v0
	v_fmac_f32_e32 v30, 0xa7c234c4, v0
	v_cvt_i32_f32_e32 v0, v0
	v_and_b32_e32 v16, 0x7fffffff, v59
	v_cmp_class_f32_e64 s[44:45], v36, s93
	buffer_store_dword v0, off, s[96:99], 0 offset:136 ; 4-byte Folded Spill
	v_div_scale_f32 v0, s[46:47], s78, s78, v20
	v_cmp_lt_f32_e64 s[46:47], |v59|, s82
	v_rcp_f32_e32 v1, v0
	v_fma_f32 v2, -v0, v1, 1.0
	v_fmac_f32_e32 v1, v2, v1
	v_div_scale_f32 v2, vcc, v20, s78, v20
	v_mul_f32_e32 v3, v2, v1
	v_fma_f32 v4, -v0, v3, v2
	v_fmac_f32_e32 v3, v4, v1
	v_fma_f32 v0, -v0, v3, v2
	v_div_fmas_f32 v0, v0, v1, v3
	v_div_fixup_f32 v33, v0, s78, v20
	v_lshrrev_b32_e32 v0, 23, v16
	v_add_u32_e32 v0, 0xffffff88, v0
	v_cmp_lt_u32_e32 vcc, 63, v0
	v_cndmask_b32_e32 v1, 0, v35, vcc
	v_add_u32_e32 v0, v1, v0
	v_cmp_lt_u32_e64 s[48:49], 31, v0
	v_cndmask_b32_e64 v1, 0, v13, s[48:49]
	v_add_u32_e32 v0, v1, v0
	v_cmp_lt_u32_e64 s[52:53], 31, v0
	v_cndmask_b32_e64 v1, 0, v13, s[52:53]
	v_add_u32_e32 v0, v1, v0
	v_and_b32_e32 v1, 0x7fffff, v16
	v_or_b32_e32 v1, 0x800000, v1
	v_mad_u64_u32 v[3:4], s[58:59], v1, s83, 0
	v_cmp_eq_u32_e64 s[56:57], 0, v0
	v_mad_u64_u32 v[9:10], s[58:59], v1, s84, v[4:5]
	v_mov_b32_e32 v4, v10
	v_mad_u64_u32 v[18:19], s[58:59], v1, s85, v[4:5]
	v_mov_b32_e32 v4, v19
	v_mad_u64_u32 v[21:22], s[58:59], v1, s86, v[4:5]
	v_cndmask_b32_e32 v3, v18, v3, vcc
	v_mov_b32_e32 v4, v22
	v_mad_u64_u32 v[46:47], s[58:59], v1, s87, v[4:5]
	v_mov_b32_e32 v4, v47
	v_mad_u64_u32 v[50:51], s[58:59], v1, s88, v[4:5]
	v_cndmask_b32_e32 v10, v46, v18, vcc
	v_mov_b32_e32 v4, v51
	v_mad_u64_u32 v[47:48], s[58:59], v1, s89, v[4:5]
	v_cndmask_b32_e32 v2, v50, v21, vcc
	v_cndmask_b32_e32 v1, v47, v46, vcc
	v_cndmask_b32_e32 v7, v48, v50, vcc
	v_cndmask_b32_e64 v4, v1, v2, s[48:49]
	v_cndmask_b32_e64 v1, v7, v1, s[48:49]
	;; [unrolled: 1-line block ×5, first 2 shown]
	v_sub_u32_e32 v7, 32, v0
	v_alignbit_b32 v0, v1, v17, v7
	v_cndmask_b32_e64 v4, v0, v1, s[56:57]
	v_cndmask_b32_e32 v0, v21, v9, vcc
	v_cndmask_b32_e64 v1, v10, v0, s[48:49]
	v_cndmask_b32_e64 v2, v2, v1, s[52:53]
	v_alignbit_b32 v9, v17, v2, v7
	v_cndmask_b32_e64 v9, v9, v17, s[56:57]
	v_bfe_u32 v19, v4, 29, 1
	v_cndmask_b32_e64 v0, v0, v3, s[48:49]
	v_alignbit_b32 v10, v4, v9, 30
	v_sub_u32_e32 v21, 0, v19
	v_cndmask_b32_e64 v0, v1, v0, s[52:53]
	v_xor_b32_e32 v10, v10, v21
	v_alignbit_b32 v1, v2, v0, v7
	v_cndmask_b32_e64 v1, v1, v2, s[56:57]
	v_ffbh_u32_e32 v3, v10
	v_alignbit_b32 v2, v9, v1, 30
	v_min_u32_e32 v3, 32, v3
	v_alignbit_b32 v0, v1, v0, 30
	v_xor_b32_e32 v2, v2, v21
	v_sub_u32_e32 v7, 31, v3
	v_xor_b32_e32 v0, v0, v21
	v_alignbit_b32 v9, v10, v2, v7
	v_alignbit_b32 v0, v2, v0, v7
	;; [unrolled: 1-line block ×3, first 2 shown]
	v_ffbh_u32_e32 v2, v1
	v_min_u32_e32 v2, 32, v2
	v_lshrrev_b32_e32 v17, 29, v4
	v_not_b32_e32 v7, v2
	v_alignbit_b32 v0, v1, v0, v7
	v_lshlrev_b32_e32 v1, 31, v17
	v_or_b32_e32 v7, 0x33000000, v1
	v_add_lshl_u32 v2, v2, v3, 23
	v_lshrrev_b32_e32 v0, 9, v0
	v_sub_u32_e32 v2, v7, v2
	v_or_b32_e32 v1, 0.5, v1
	v_lshlrev_b32_e32 v3, 23, v3
	v_or_b32_e32 v0, v2, v0
	v_lshrrev_b32_e32 v2, 9, v9
	v_sub_u32_e32 v1, v1, v3
	v_or_b32_e32 v1, v2, v1
	v_mul_f32_e32 v2, 0x3fc90fda, v1
	v_fma_f32 v3, v1, s90, -v2
	v_fmac_f32_e32 v3, 0x33a22168, v1
	v_fmac_f32_e32 v3, 0x3fc90fda, v0
	v_add_f32_e32 v0, v2, v3
	buffer_store_dword v0, off, s[96:99], 0 offset:144 ; 4-byte Folded Spill
	v_lshrrev_b32_e32 v0, 30, v4
	v_add_u32_e32 v0, v19, v0
	buffer_store_dword v0, off, s[96:99], 0 offset:148 ; 4-byte Folded Spill
	v_mul_f32_e64 v0, |v59|, s91
	v_rndne_f32_e32 v0, v0
	v_fma_f32 v44, v0, s92, |v59|
	v_fmac_f32_e32 v44, 0xb3a22168, v0
	v_fmac_f32_e32 v44, 0xa7c234c4, v0
	v_cvt_i32_f32_e32 v0, v0
	v_mul_f32_e32 v50, v36, v20
	v_and_b32_e32 v34, 0x7fffffff, v50
	v_cmp_class_f32_e64 s[48:49], v59, s93
	buffer_store_dword v0, off, s[96:99], 0 offset:152 ; 4-byte Folded Spill
	v_lshrrev_b32_e32 v0, 23, v34
	v_add_u32_e32 v0, 0xffffff88, v0
	v_cmp_lt_u32_e32 vcc, 63, v0
	v_cndmask_b32_e32 v1, 0, v35, vcc
	v_add_u32_e32 v0, v1, v0
	v_cmp_lt_u32_e64 s[56:57], 31, v0
	v_cndmask_b32_e64 v1, 0, v13, s[56:57]
	v_add_u32_e32 v0, v1, v0
	v_cmp_lt_u32_e64 s[58:59], 31, v0
	v_cndmask_b32_e64 v1, 0, v13, s[58:59]
	v_add_u32_e32 v0, v1, v0
	v_and_b32_e32 v1, 0x7fffff, v34
	v_or_b32_e32 v1, 0x800000, v1
	v_mad_u64_u32 v[3:4], s[62:63], v1, s83, 0
	v_cmp_eq_u32_e64 s[60:61], 0, v0
	v_cmp_lt_f32_e64 s[52:53], |v50|, s82
	v_mad_u64_u32 v[9:10], s[62:63], v1, s84, v[4:5]
	v_mov_b32_e32 v4, v10
	v_mad_u64_u32 v[18:19], s[62:63], v1, s85, v[4:5]
	v_mov_b32_e32 v4, v19
	v_mad_u64_u32 v[21:22], s[62:63], v1, s86, v[4:5]
	v_cndmask_b32_e32 v3, v18, v3, vcc
	v_mov_b32_e32 v4, v22
	v_mad_u64_u32 v[47:48], s[62:63], v1, s87, v[4:5]
	v_mov_b32_e32 v4, v48
	v_mad_u64_u32 v[48:49], s[62:63], v1, s88, v[4:5]
	v_cndmask_b32_e32 v10, v47, v18, vcc
	v_mov_b32_e32 v4, v49
	v_mad_u64_u32 v[22:23], s[62:63], v1, s89, v[4:5]
	v_cndmask_b32_e32 v2, v48, v21, vcc
	v_cndmask_b32_e32 v1, v22, v47, vcc
	;; [unrolled: 1-line block ×3, first 2 shown]
	v_cndmask_b32_e64 v4, v1, v2, s[56:57]
	v_cndmask_b32_e64 v1, v7, v1, s[56:57]
	;; [unrolled: 1-line block ×5, first 2 shown]
	v_sub_u32_e32 v7, 32, v0
	v_alignbit_b32 v0, v1, v17, v7
	v_cndmask_b32_e64 v4, v0, v1, s[60:61]
	v_cndmask_b32_e32 v0, v21, v9, vcc
	v_cndmask_b32_e64 v1, v10, v0, s[56:57]
	v_cndmask_b32_e64 v2, v2, v1, s[58:59]
	v_alignbit_b32 v9, v17, v2, v7
	v_cndmask_b32_e64 v9, v9, v17, s[60:61]
	v_bfe_u32 v19, v4, 29, 1
	v_cndmask_b32_e64 v0, v0, v3, s[56:57]
	v_alignbit_b32 v10, v4, v9, 30
	v_sub_u32_e32 v21, 0, v19
	v_cndmask_b32_e64 v0, v1, v0, s[58:59]
	v_xor_b32_e32 v10, v10, v21
	v_alignbit_b32 v1, v2, v0, v7
	v_cndmask_b32_e64 v1, v1, v2, s[60:61]
	v_ffbh_u32_e32 v3, v10
	v_alignbit_b32 v2, v9, v1, 30
	v_min_u32_e32 v3, 32, v3
	v_alignbit_b32 v0, v1, v0, 30
	v_xor_b32_e32 v2, v2, v21
	v_sub_u32_e32 v7, 31, v3
	v_xor_b32_e32 v0, v0, v21
	v_alignbit_b32 v9, v10, v2, v7
	v_alignbit_b32 v0, v2, v0, v7
	;; [unrolled: 1-line block ×3, first 2 shown]
	v_ffbh_u32_e32 v2, v1
	v_min_u32_e32 v2, 32, v2
	v_lshrrev_b32_e32 v17, 29, v4
	v_not_b32_e32 v7, v2
	v_alignbit_b32 v0, v1, v0, v7
	v_lshlrev_b32_e32 v1, 31, v17
	v_or_b32_e32 v7, 0x33000000, v1
	v_add_lshl_u32 v2, v2, v3, 23
	v_lshrrev_b32_e32 v0, 9, v0
	v_sub_u32_e32 v2, v7, v2
	v_or_b32_e32 v1, 0.5, v1
	v_lshlrev_b32_e32 v3, 23, v3
	v_or_b32_e32 v0, v2, v0
	v_lshrrev_b32_e32 v2, 9, v9
	v_sub_u32_e32 v1, v1, v3
	v_or_b32_e32 v1, v2, v1
	v_mul_f32_e32 v2, 0x3fc90fda, v1
	v_fma_f32 v3, v1, s90, -v2
	v_fmac_f32_e32 v3, 0x33a22168, v1
	v_fmac_f32_e32 v3, 0x3fc90fda, v0
	v_add_f32_e32 v0, v2, v3
	buffer_store_dword v0, off, s[96:99], 0 offset:168 ; 4-byte Folded Spill
	v_lshrrev_b32_e32 v0, 30, v4
	v_add_u32_e32 v0, v19, v0
	buffer_store_dword v0, off, s[96:99], 0 offset:172 ; 4-byte Folded Spill
	v_mul_f32_e64 v0, |v50|, s91
	v_rndne_f32_e32 v0, v0
	v_fma_f32 v47, v0, s92, |v50|
	v_fmac_f32_e32 v47, 0xb3a22168, v0
	v_fmac_f32_e32 v47, 0xa7c234c4, v0
	v_cvt_i32_f32_e32 v17, v0
	v_sub_f32_e32 v0, v41, v54
	v_add_f32_e32 v1, v41, v54
	v_mul_f32_e32 v0, v0, v1
	v_mul_f32_e32 v0, v0, v55
	buffer_store_dword v0, off, s[96:99], 0 offset:208 ; 4-byte Folded Spill
	v_mul_f32_e32 v0, v37, v54
	v_mul_f32_e32 v0, v0, v55
	v_and_b32_e32 v1, 0x7fffffff, v12
	buffer_store_dword v0, off, s[96:99], 0 offset:212 ; 4-byte Folded Spill
	v_lshrrev_b32_e32 v0, 23, v1
	v_add_u32_e32 v0, 0xffffff88, v0
	v_cmp_lt_u32_e32 vcc, 63, v0
	v_mov_b32_e32 v2, v1
	v_cndmask_b32_e32 v1, 0, v35, vcc
	v_add_u32_e32 v0, v1, v0
	v_cmp_lt_u32_e64 s[60:61], 31, v0
	v_cndmask_b32_e64 v1, 0, v13, s[60:61]
	v_add_u32_e32 v0, v1, v0
	v_cmp_lt_u32_e64 s[62:63], 31, v0
	v_cndmask_b32_e64 v1, 0, v13, s[62:63]
	v_add_u32_e32 v7, v1, v0
	v_and_b32_e32 v0, 0x7fffff, v2
	v_or_b32_e32 v2, 0x800000, v0
	v_mad_u64_u32 v[3:4], s[4:5], v2, s83, 0
	v_cmp_eq_u32_e64 s[64:65], 0, v7
	v_sub_u32_e32 v7, 32, v7
	v_mad_u64_u32 v[9:10], s[4:5], v2, s84, v[4:5]
	v_mov_b32_e32 v13, 0x7fc00000
	v_mov_b32_e32 v23, 0x3d2aabf7
	;; [unrolled: 1-line block ×3, first 2 shown]
	v_mad_u64_u32 v[18:19], s[4:5], v2, s85, v[4:5]
	v_cmp_lt_f32_e64 s[58:59], |v12|, s82
	v_cmp_class_f32_e64 s[56:57], v50, s93
	v_mov_b32_e32 v4, v19
	v_mad_u64_u32 v[48:49], s[4:5], v2, s86, v[4:5]
	v_cndmask_b32_e32 v3, v18, v3, vcc
	v_mov_b32_e32 v4, v49
	v_mad_u64_u32 v[0:1], s[4:5], v2, s87, v[4:5]
	v_mov_b32_e32 v4, v1
	v_mad_u64_u32 v[55:56], s[4:5], v2, s88, v[4:5]
	;; [unrolled: 2-line block ×3, first 2 shown]
	v_cndmask_b32_e32 v10, v55, v48, vcc
	v_cndmask_b32_e32 v1, v1, v0, vcc
	;; [unrolled: 1-line block ×4, first 2 shown]
	v_cndmask_b32_e64 v4, v1, v10, s[60:61]
	v_cndmask_b32_e64 v1, v2, v1, s[60:61]
	;; [unrolled: 1-line block ×5, first 2 shown]
	v_alignbit_b32 v4, v1, v10, v7
	v_cndmask_b32_e64 v4, v4, v1, s[64:65]
	v_cndmask_b32_e32 v1, v48, v9, vcc
	v_cndmask_b32_e64 v0, v0, v1, s[60:61]
	v_cndmask_b32_e64 v2, v2, v0, s[62:63]
	v_alignbit_b32 v9, v10, v2, v7
	v_cndmask_b32_e64 v9, v9, v10, s[64:65]
	v_bfe_u32 v21, v4, 29, 1
	v_cndmask_b32_e64 v1, v1, v3, s[60:61]
	v_alignbit_b32 v10, v4, v9, 30
	v_sub_u32_e32 v48, 0, v21
	v_cndmask_b32_e64 v0, v0, v1, s[62:63]
	v_xor_b32_e32 v10, v10, v48
	v_alignbit_b32 v1, v2, v0, v7
	v_cndmask_b32_e64 v1, v1, v2, s[64:65]
	v_ffbh_u32_e32 v3, v10
	v_alignbit_b32 v2, v9, v1, 30
	v_min_u32_e32 v3, 32, v3
	v_alignbit_b32 v0, v1, v0, 30
	v_xor_b32_e32 v2, v2, v48
	v_sub_u32_e32 v7, 31, v3
	v_xor_b32_e32 v0, v0, v48
	v_alignbit_b32 v9, v10, v2, v7
	v_alignbit_b32 v0, v2, v0, v7
	;; [unrolled: 1-line block ×3, first 2 shown]
	v_ffbh_u32_e32 v2, v1
	v_min_u32_e32 v2, 32, v2
	v_lshrrev_b32_e32 v19, 29, v4
	v_not_b32_e32 v7, v2
	v_alignbit_b32 v0, v1, v0, v7
	v_lshlrev_b32_e32 v1, 31, v19
	v_or_b32_e32 v7, 0x33000000, v1
	v_add_lshl_u32 v2, v2, v3, 23
	v_lshrrev_b32_e32 v0, 9, v0
	v_sub_u32_e32 v2, v7, v2
	v_or_b32_e32 v1, 0.5, v1
	v_lshlrev_b32_e32 v3, 23, v3
	v_or_b32_e32 v0, v2, v0
	v_lshrrev_b32_e32 v2, 9, v9
	v_sub_u32_e32 v1, v1, v3
	v_or_b32_e32 v1, v2, v1
	v_mul_f32_e32 v2, 0x3fc90fda, v1
	v_fma_f32 v3, v1, s90, -v2
	v_fmac_f32_e32 v3, 0x33a22168, v1
	v_fmac_f32_e32 v3, 0x3fc90fda, v0
	v_add_f32_e32 v0, v2, v3
	buffer_store_dword v0, off, s[96:99], 0 offset:176 ; 4-byte Folded Spill
	v_lshrrev_b32_e32 v0, 30, v4
	v_add_u32_e32 v46, v21, v0
	v_mul_f32_e64 v0, |v12|, s91
	v_rndne_f32_e32 v0, v0
	v_fma_f32 v21, v0, s92, |v12|
	v_fmac_f32_e32 v21, 0xb3a22168, v0
	v_fmac_f32_e32 v21, 0xa7c234c4, v0
	v_cvt_i32_f32_e32 v22, v0
	v_div_scale_f32 v0, s[4:5], v12, v12, v41
	v_mov_b32_e32 v7, 0xbe2aaa9d
	v_mov_b32_e32 v19, 0x3c0881c4
	v_cmp_class_f32_e64 s[60:61], v12, s93
	v_rcp_f32_e32 v1, v0
	v_fma_f32 v2, -v0, v1, 1.0
	v_fmac_f32_e32 v1, v2, v1
	v_div_scale_f32 v2, vcc, v41, v12, v41
	v_mul_f32_e32 v3, v2, v1
	v_fma_f32 v4, -v0, v3, v2
	v_fmac_f32_e32 v3, v4, v1
	v_fma_f32 v0, -v0, v3, v2
	v_div_fmas_f32 v0, v0, v1, v3
	v_div_fixup_f32 v0, v0, v12, v41
	buffer_store_dword v0, off, s[96:99], 0 offset:216 ; 4-byte Folded Spill
	v_div_scale_f32 v0, s[4:5], v12, v12, v54
	v_rcp_f32_e32 v1, v0
	v_fma_f32 v2, -v0, v1, 1.0
	v_fmac_f32_e32 v1, v2, v1
	v_div_scale_f32 v2, vcc, v54, v12, v54
	v_mul_f32_e32 v3, v2, v1
	v_fma_f32 v4, -v0, v3, v2
	v_fmac_f32_e32 v3, v4, v1
	v_fma_f32 v0, -v0, v3, v2
	v_div_fmas_f32 v0, v0, v1, v3
	v_mov_b32_e32 v3, 0x3c0881c4
	v_mov_b32_e32 v4, 0x3d2aabf7
	v_div_fixup_f32 v0, v0, v12, v54
	buffer_store_dword v0, off, s[96:99], 0 offset:220 ; 4-byte Folded Spill
	buffer_load_dword v1, off, s[96:99], 0 offset:8 ; 4-byte Folded Reload
	buffer_load_dword v2, off, s[96:99], 0 offset:20 ; 4-byte Folded Reload
	v_cndmask_b32_e64 v0, v58, v25, s[8:9]
	v_mov_b32_e32 v25, 0xbab64f3b
	v_mov_b32_e32 v58, 0xbf000004
	s_waitcnt vmcnt(0)
	v_cndmask_b32_e64 v1, v1, v2, s[8:9]
	v_mul_f32_e32 v2, v0, v0
	v_fmac_f32_e32 v3, 0xb94c1982, v2
	v_fma_f32 v3, v2, v3, v7
	v_mul_f32_e32 v3, v2, v3
	v_fmac_f32_e32 v0, v0, v3
	v_mov_b32_e32 v3, 0xbab64f3b
	v_fmac_f32_e32 v3, 0x37d75334, v2
	v_fma_f32 v3, v2, v3, v4
	v_mov_b32_e32 v4, 0xbf000004
	v_fma_f32 v3, v2, v3, v4
	v_fma_f32 v2, v2, v3, 1.0
	v_and_b32_e32 v3, 1, v1
	v_lshlrev_b32_e32 v1, 30, v1
	v_and_b32_e32 v1, 0x80000000, v1
	v_and_b32_e32 v4, 0x7fffffff, v41
	v_cmp_eq_u32_e64 s[8:9], 0, v3
	v_or_b32_e32 v4, v1, v4
	v_cndmask_b32_e64 v3, v2, v0, s[8:9]
	v_xor_b32_e32 v4, v4, v41
	v_xor_b32_e32 v3, v4, v3
	v_cndmask_b32_e64 v9, v13, v3, s[10:11]
	buffer_load_dword v3, off, s[96:99], 0 offset:36 ; 4-byte Folded Reload
	buffer_load_dword v10, off, s[96:99], 0 offset:44 ; 4-byte Folded Reload
	;; [unrolled: 1-line block ×3, first 2 shown]
	v_cndmask_b32_e64 v0, -v0, v2, s[8:9]
	buffer_store_dword v9, off, s[96:99], 0 offset:20 ; 4-byte Folded Spill
	v_xor_b32_e32 v0, v1, v0
	v_cndmask_b32_e64 v0, v13, v0, s[10:11]
	buffer_store_dword v0, off, s[96:99], 0 offset:232 ; 4-byte Folded Spill
	s_waitcnt vmcnt(4)
	v_cndmask_b32_e64 v3, v3, v32, s[12:13]
	v_mul_f32_e32 v18, v3, v3
	v_fmac_f32_e32 v19, 0xb94c1982, v18
	v_fmac_f32_e32 v25, 0x37d75334, v18
	s_waitcnt vmcnt(2)
	v_cndmask_b32_e64 v4, v4, v10, s[12:13]
	v_fma_f32 v19, v18, v19, v7
	v_fma_f32 v25, v18, v25, v23
	v_mul_f32_e32 v19, v18, v19
	v_fma_f32 v25, v18, v25, v58
	v_and_b32_e32 v32, 1, v4
	v_fma_f32 v19, v3, v19, v3
	v_fma_f32 v25, v18, v25, 1.0
	v_cmp_eq_u32_e64 s[62:63], 0, v32
	v_lshlrev_b32_e32 v4, 30, v4
	v_cndmask_b32_e64 v32, -v19, v25, s[62:63]
	v_and_b32_e32 v4, 0x80000000, v4
	v_xor_b32_e32 v32, v4, v32
	v_cndmask_b32_e64 v32, v13, v32, s[14:15]
	v_div_scale_f32 v48, s[4:5], v32, v32, v9
	v_cndmask_b32_e64 v0, v25, v19, s[62:63]
	v_or_b32_e32 v1, v4, v62
	v_xor_b32_e32 v0, v1, v0
	v_xor_b32_e32 v0, v0, v54
	v_cndmask_b32_e64 v0, v13, v0, s[14:15]
	buffer_store_dword v0, off, s[96:99], 0 offset:8 ; 4-byte Folded Spill
	buffer_load_dword v0, off, s[96:99], 0 offset:84 ; 4-byte Folded Reload
	v_rcp_f32_e32 v49, v48
	v_fma_f32 v55, -v48, v49, 1.0
	v_fmac_f32_e32 v49, v55, v49
	v_div_scale_f32 v55, vcc, v9, v32, v9
	v_mul_f32_e32 v56, v55, v49
	v_fma_f32 v51, -v48, v56, v55
	v_fmac_f32_e32 v56, v51, v49
	v_fma_f32 v48, -v48, v56, v55
	v_div_fmas_f32 v48, v48, v49, v56
	v_mov_b32_e32 v49, 0xbf039337
	v_fmac_f32_e32 v49, 0x3c971480, v18
	v_mov_b32_e32 v51, 0x3f93f425
	v_fma_f32 v49, v18, v49, v51
	v_rcp_f32_e32 v49, v49
	v_div_fixup_f32 v9, v48, v32, v9
	buffer_store_dword v9, off, s[96:99], 0 offset:224 ; 4-byte Folded Spill
	buffer_load_dword v9, off, s[96:99], 0 offset:32 ; 4-byte Folded Reload
	v_mov_b32_e32 v48, 0x3ec54587
	v_fmac_f32_e32 v48, 0xbc8cedd3, v18
	v_mul_f32_e32 v48, v48, v49
	v_mul_f32_e32 v18, v18, v48
	v_fma_f32 v48, v18, v3, v3
	v_sub_f32_e32 v49, v48, v3
	v_fma_f32 v3, v18, v3, -v49
	v_rcp_f32_e32 v18, v48
	v_fma_f32 v49, v48, -v18, 1.0
	v_fma_f32 v3, v3, -v18, v49
	v_fma_f32 v3, v3, -v18, -v18
	s_waitcnt vmcnt(2)
	v_cndmask_b32_e64 v0, v0, v8, s[22:23]
	v_mov_b32_e32 v8, 0x3c0881c4
	s_waitcnt vmcnt(0)
	v_cndmask_b32_e64 v32, v9, v10, s[12:13]
	v_and_b32_e32 v32, 1, v32
	v_cmp_eq_u32_e32 vcc, 0, v32
	v_cndmask_b32_e32 v3, v3, v48, vcc
	v_xor_b32_e32 v3, v54, v3
	v_xor_b32_e32 v3, v3, v62
	v_cndmask_b32_e64 v3, v13, v3, s[14:15]
	buffer_store_dword v3, off, s[96:99], 0 offset:228 ; 4-byte Folded Spill
	buffer_load_dword v1, off, s[96:99], 0 offset:88 ; 4-byte Folded Reload
	buffer_load_dword v2, off, s[96:99], 0 offset:92 ; 4-byte Folded Reload
	v_mov_b32_e32 v3, 0x3c0881c4
	v_mov_b32_e32 v10, 0x37000000
	s_waitcnt vmcnt(0)
	v_cndmask_b32_e64 v1, v1, v2, s[22:23]
	v_mul_f32_e32 v2, v0, v0
	v_fmac_f32_e32 v3, 0xb94c1982, v2
	v_fma_f32 v3, v2, v3, v7
	v_mul_f32_e32 v3, v2, v3
	v_fmac_f32_e32 v0, v0, v3
	v_mov_b32_e32 v3, 0xbab64f3b
	v_fmac_f32_e32 v3, 0x37d75334, v2
	v_fma_f32 v3, v2, v3, v23
	v_fma_f32 v3, v2, v3, v58
	v_fma_f32 v2, v2, v3, 1.0
	v_and_b32_e32 v3, 1, v1
	v_cmp_eq_u32_e32 vcc, 0, v3
	v_cndmask_b32_e64 v3, -v0, v2, vcc
	v_cndmask_b32_e32 v0, v2, v0, vcc
	v_lshlrev_b32_e32 v1, 30, v1
	v_xor_b32_e32 v2, v0, v20
	v_and_b32_e32 v1, 0x80000000, v1
	v_xor_b32_e32 v2, v2, v45
	v_xor_b32_e32 v2, v2, v1
	;; [unrolled: 1-line block ×3, first 2 shown]
	v_cndmask_b32_e64 v62, v13, v2, s[30:31]
	buffer_load_dword v2, off, s[96:99], 0 offset:112 ; 4-byte Folded Reload
	v_cndmask_b32_e64 v37, v13, v3, s[30:31]
	buffer_load_dword v3, off, s[96:99], 0 offset:116 ; 4-byte Folded Reload
	buffer_load_dword v4, off, s[96:99], 0 offset:120 ; 4-byte Folded Reload
	;; [unrolled: 1-line block ×3, first 2 shown]
	v_or_b32_e32 v1, v1, v45
	v_xor_b32_e32 v1, v1, v20
	v_xor_b32_e32 v0, v1, v0
	v_cndmask_b32_e64 v0, v13, v0, s[30:31]
	s_waitcnt vmcnt(3)
	v_cndmask_b32_e64 v2, v2, v53, s[38:39]
	s_waitcnt vmcnt(1)
	v_cndmask_b32_e64 v3, v3, v4, s[38:39]
	v_mul_f32_e32 v4, v2, v2
	v_fmac_f32_e32 v8, 0xb94c1982, v4
	v_fma_f32 v8, v4, v8, v7
	v_mul_f32_e32 v8, v4, v8
	v_fmac_f32_e32 v2, v2, v8
	v_mov_b32_e32 v8, 0xbab64f3b
	v_fmac_f32_e32 v8, 0x37d75334, v4
	v_fma_f32 v8, v4, v8, v23
	v_fma_f32 v8, v4, v8, v58
	v_fma_f32 v4, v4, v8, 1.0
	v_and_b32_e32 v8, 1, v3
	v_cmp_eq_u32_e32 vcc, 0, v8
	v_cndmask_b32_e64 v8, -v2, v4, vcc
	v_cndmask_b32_e32 v2, v4, v2, vcc
	v_lshlrev_b32_e32 v3, 30, v3
	v_xor_b32_e32 v2, v27, v2
	v_and_b32_e32 v3, 0x80000000, v3
	v_xor_b32_e32 v2, v2, v26
	v_xor_b32_e32 v8, v3, v8
	;; [unrolled: 1-line block ×3, first 2 shown]
	v_mov_b32_e32 v3, 0xffc00000
	v_cndmask_b32_e64 v2, v3, -v2, s[42:43]
	buffer_load_dword v3, off, s[96:99], 0 offset:140 ; 4-byte Folded Reload
	v_cmp_neq_f32_e32 vcc, 1.0, v36
	v_cndmask_b32_e32 v1, 1.0, v0, vcc
	v_cmp_neq_f32_e32 vcc, 0, v1
	v_cndmask_b32_e64 v8, v13, v8, s[42:43]
	s_waitcnt vmcnt(1)
	v_mul_f32_e32 v8, v8, v9
	buffer_store_dword v8, off, s[96:99], 0 offset:84 ; 4-byte Folded Spill
	v_mov_b32_e32 v9, 0x3ecccdef
	v_cmp_neq_f32_e64 s[4:5], v1, |v1|
	v_cmp_gt_f32_e64 s[12:13], 0, v1
	s_waitcnt vmcnt(1)
	v_mul_f32_e32 v2, v2, v3
	buffer_store_dword v2, off, s[96:99], 0 offset:88 ; 4-byte Folded Spill
	v_cndmask_b32_e32 v2, 1.0, v36, vcc
	v_frexp_mant_f32_e64 v3, |v2|
	v_cmp_gt_f32_e32 vcc, s3, v3
	v_cndmask_b32_e64 v4, 1.0, 2.0, vcc
	v_mul_f32_e32 v3, v3, v4
	v_add_f32_e32 v8, 1.0, v3
	v_add_f32_e32 v18, -1.0, v8
	v_add_f32_e32 v4, -1.0, v3
	v_sub_f32_e32 v3, v3, v18
	v_rcp_f32_e32 v18, v8
	v_cmp_lt_f32_e64 s[10:11], |v2|, 1.0
	s_xor_b64 s[4:5], s[4:5], s[10:11]
	v_cmp_neq_f32_e64 s[10:11], |v2|, 1.0
	v_mul_f32_e32 v19, v4, v18
	v_mul_f32_e32 v25, v8, v19
	v_fma_f32 v8, v19, v8, -v25
	v_fmac_f32_e32 v8, v19, v3
	v_add_f32_e32 v3, v25, v8
	v_sub_f32_e32 v26, v4, v3
	v_sub_f32_e32 v25, v3, v25
	;; [unrolled: 1-line block ×5, first 2 shown]
	v_add_f32_e32 v3, v4, v3
	v_add_f32_e32 v3, v26, v3
	v_mul_f32_e32 v3, v18, v3
	v_add_f32_e32 v8, v19, v3
	v_sub_f32_e32 v4, v8, v19
	v_sub_f32_e32 v18, v3, v4
	v_mul_f32_e32 v3, v8, v8
	v_fma_f32 v4, v8, v8, -v3
	v_add_f32_e32 v19, v18, v18
	v_fmac_f32_e32 v4, v8, v19
	v_add_f32_e32 v19, v3, v4
	v_sub_f32_e32 v3, v19, v3
	v_sub_f32_e32 v3, v4, v3
	v_mul_f32_e32 v4, v8, v19
	v_fma_f32 v26, v19, v8, -v4
	v_fmac_f32_e32 v26, v19, v18
	v_mov_b32_e32 v25, 0x3e91f4c4
	v_fmac_f32_e32 v26, v3, v8
	v_fmac_f32_e32 v25, 0x3e76c4e1, v19
	v_add_f32_e32 v27, v4, v26
	v_fma_f32 v25, v19, v25, v9
	v_sub_f32_e32 v4, v27, v4
	v_sub_f32_e32 v4, v26, v4
	v_mul_f32_e32 v26, v19, v25
	v_fma_f32 v19, v19, v25, -v26
	v_fmac_f32_e32 v19, v3, v25
	v_add_f32_e32 v3, v26, v19
	v_add_f32_e32 v25, 0x3f2aaaaa, v3
	v_sub_f32_e32 v26, v3, v26
	v_sub_f32_e32 v19, v19, v26
	v_add_f32_e32 v26, 0xbf2aaaaa, v25
	v_add_f32_e32 v19, 0x31739010, v19
	v_sub_f32_e32 v3, v3, v26
	v_add_f32_e32 v3, v19, v3
	v_add_f32_e32 v19, v25, v3
	v_sub_f32_e32 v25, v25, v19
	v_add_f32_e32 v3, v3, v25
	v_mul_f32_e32 v25, v27, v19
	v_fma_f32 v26, v27, v19, -v25
	v_fmac_f32_e32 v26, v27, v3
	v_fmac_f32_e32 v26, v4, v19
	v_cvt_f64_f32_e64 v[3:4], |v2|
	v_ldexp_f32 v8, v8, 1
	v_frexp_exp_i32_f64_e32 v3, v[3:4]
	v_subbrev_co_u32_e32 v3, vcc, 0, v3, vcc
	v_cvt_f32_i32_e32 v3, v3
	v_mul_f32_e32 v4, 0x3f317218, v3
	v_fma_f32 v19, v3, s94, -v4
	v_fmac_f32_e32 v19, 0xb102e308, v3
	v_ldexp_f32 v3, v18, 1
	v_add_f32_e32 v18, v4, v19
	v_sub_f32_e32 v4, v18, v4
	v_sub_f32_e32 v4, v19, v4
	v_add_f32_e32 v19, v25, v26
	v_sub_f32_e32 v25, v19, v25
	v_sub_f32_e32 v25, v26, v25
	;; [unrolled: 3-line block ×3, first 2 shown]
	v_add_f32_e32 v3, v3, v25
	v_add_f32_e32 v3, v3, v8
	v_add_f32_e32 v8, v26, v3
	v_sub_f32_e32 v19, v8, v26
	v_sub_f32_e32 v3, v3, v19
	v_add_f32_e32 v19, v18, v8
	v_sub_f32_e32 v25, v19, v18
	v_sub_f32_e32 v26, v19, v25
	;; [unrolled: 1-line block ×4, first 2 shown]
	v_add_f32_e32 v8, v8, v18
	v_add_f32_e32 v18, v4, v3
	v_sub_f32_e32 v25, v18, v4
	v_sub_f32_e32 v26, v18, v25
	;; [unrolled: 1-line block ×4, first 2 shown]
	v_add_f32_e32 v3, v3, v4
	v_add_f32_e32 v4, v18, v8
	;; [unrolled: 1-line block ×3, first 2 shown]
	v_sub_f32_e32 v18, v8, v19
	v_sub_f32_e32 v4, v4, v18
	v_add_f32_e32 v3, v3, v4
	v_add_f32_e32 v4, v8, v3
	v_sub_f32_e32 v8, v4, v8
	v_sub_f32_e32 v3, v3, v8
	v_mul_f32_e32 v8, v1, v4
	v_fma_f32 v4, v1, v4, -v8
	v_fmac_f32_e32 v4, v1, v3
	v_add_f32_e32 v3, v8, v4
	v_cmp_class_f32_e64 vcc, v8, s81
	v_sub_f32_e32 v18, v3, v8
	v_cndmask_b32_e32 v3, v3, v8, vcc
	v_sub_f32_e32 v4, v4, v18
	v_cmp_neq_f32_e64 vcc, |v3|, s79
	v_cndmask_b32_e32 v4, 0, v4, vcc
	v_cmp_eq_f32_e32 vcc, s2, v3
	v_cndmask_b32_e32 v8, 0, v10, vcc
	v_sub_f32_e32 v3, v3, v8
	v_add_f32_e32 v4, v8, v4
	v_mul_f32_e32 v8, 0x3fb8aa3b, v3
	v_fma_f32 v18, v3, s95, -v8
	v_rndne_f32_e32 v19, v8
	v_fmac_f32_e32 v18, 0x32a5705f, v3
	v_sub_f32_e32 v8, v8, v19
	v_add_f32_e32 v8, v8, v18
	v_exp_f32_e32 v8, v8
	v_cvt_i32_f32_e32 v18, v19
	v_cmp_ngt_f32_e32 vcc, s33, v3
	v_ldexp_f32 v8, v8, v18
	v_cndmask_b32_e32 v8, 0, v8, vcc
	v_cmp_nlt_f32_e32 vcc, s2, v3
	v_cndmask_b32_e32 v3, v60, v8, vcc
	v_fma_f32 v4, v3, v4, v3
	v_cmp_class_f32_e64 vcc, v3, s81
	v_cndmask_b32_e32 v3, v4, v3, vcc
	v_trunc_f32_e32 v4, v1
	v_cmp_eq_f32_e32 vcc, v4, v1
	v_mul_f32_e32 v4, 0.5, v1
	v_trunc_f32_e32 v8, v4
	v_cmp_neq_f32_e64 s[8:9], v8, v4
	s_and_b64 vcc, vcc, s[8:9]
	v_cndmask_b32_e32 v4, 1.0, v2, vcc
	v_bfi_b32 v3, s80, v3, v4
	v_cndmask_b32_e64 v4, v60, 0, s[4:5]
	v_cmp_class_f32_e64 s[8:9], v1, s81
	v_cndmask_b32_e64 v4, 1.0, v4, s[10:11]
	v_cndmask_b32_e64 v3, v3, v4, s[8:9]
	v_cmp_class_f32_e64 s[4:5], v2, s81
	v_cmp_eq_f32_e64 s[8:9], 0, v2
	s_or_b64 s[10:11], s[8:9], s[4:5]
	s_xor_b64 s[4:5], s[12:13], s[8:9]
	v_cndmask_b32_e64 v4, v60, 0, s[4:5]
	v_cndmask_b32_e32 v8, 0, v2, vcc
	v_bfi_b32 v4, s80, v4, v8
	v_cndmask_b32_e64 v3, v3, v4, s[10:11]
	v_cmp_o_f32_e32 vcc, v2, v1
	v_cndmask_b32_e32 v1, v13, v3, vcc
	v_mul_f32_e32 v2, v37, v1
	v_mul_f32_e32 v0, v0, v1
	buffer_store_dword v2, off, s[96:99], 0 offset:32 ; 4-byte Folded Spill
	buffer_store_dword v0, off, s[96:99], 0 offset:36 ; 4-byte Folded Spill
	buffer_load_dword v0, off, s[96:99], 0 offset:156 ; 4-byte Folded Reload
	s_nop 0
	buffer_load_dword v1, off, s[96:99], 0 offset:160 ; 4-byte Folded Reload
	buffer_load_dword v2, off, s[96:99], 0 offset:164 ; 4-byte Folded Reload
	;; [unrolled: 1-line block ×3, first 2 shown]
	v_mov_b32_e32 v3, 0x3c0881c4
	s_waitcnt vmcnt(3)
	v_cndmask_b32_e64 v0, v0, v24, s[50:51]
	s_waitcnt vmcnt(1)
	v_cndmask_b32_e64 v1, v1, v2, s[50:51]
	v_mul_f32_e32 v2, v0, v0
	v_fmac_f32_e32 v3, 0xb94c1982, v2
	v_fma_f32 v3, v2, v3, v7
	v_mul_f32_e32 v3, v2, v3
	v_fmac_f32_e32 v0, v0, v3
	v_mov_b32_e32 v3, 0xbab64f3b
	v_fmac_f32_e32 v3, 0x37d75334, v2
	v_fma_f32 v3, v2, v3, v23
	v_fma_f32 v3, v2, v3, v58
	v_fma_f32 v2, v2, v3, 1.0
	v_and_b32_e32 v3, 1, v1
	v_cmp_eq_u32_e32 vcc, 0, v3
	v_cndmask_b32_e64 v3, -v0, v2, vcc
	v_cndmask_b32_e32 v0, v2, v0, vcc
	v_lshlrev_b32_e32 v1, 30, v1
	v_xor_b32_e32 v0, v42, v0
	v_and_b32_e32 v1, 0x80000000, v1
	v_xor_b32_e32 v0, v0, v40
	v_xor_b32_e32 v3, v1, v3
	;; [unrolled: 1-line block ×3, first 2 shown]
	v_cndmask_b32_e64 v3, v13, v3, s[54:55]
	v_cndmask_b32_e64 v0, v13, v0, s[54:55]
	s_waitcnt vmcnt(0)
	v_mul_f32_e32 v3, v4, v3
	v_mul_f32_e32 v0, v4, v0
	buffer_store_dword v3, off, s[96:99], 0 offset:92 ; 4-byte Folded Spill
	buffer_store_dword v0, off, s[96:99], 0 offset:108 ; 4-byte Folded Spill
	buffer_load_dword v0, off, s[96:99], 0 offset:72 ; 4-byte Folded Reload
	s_nop 0
	buffer_load_dword v1, off, s[96:99], 0 offset:76 ; 4-byte Folded Reload
	buffer_load_dword v2, off, s[96:99], 0 offset:80 ; 4-byte Folded Reload
	v_mov_b32_e32 v4, 0xbf039337
	v_mov_b32_e32 v3, 0x3ec54587
	s_waitcnt vmcnt(2)
	v_cndmask_b32_e64 v0, v0, v6, s[24:25]
	s_waitcnt vmcnt(0)
	v_cndmask_b32_e64 v1, v1, v2, s[24:25]
	v_mul_f32_e32 v2, v0, v0
	v_fmac_f32_e32 v4, 0x3c971480, v2
	v_fma_f32 v4, v2, v4, v51
	v_rcp_f32_e32 v4, v4
	v_fmac_f32_e32 v3, 0xbc8cedd3, v2
	v_and_b32_e32 v1, 1, v1
	v_cmp_eq_u32_e32 vcc, 0, v1
	v_mul_f32_e32 v3, v3, v4
	v_mul_f32_e32 v2, v2, v3
	v_fma_f32 v3, v2, v0, v0
	v_sub_f32_e32 v4, v3, v0
	v_fma_f32 v0, v2, v0, -v4
	v_rcp_f32_e32 v2, v3
	v_fma_f32 v4, v3, -v2, 1.0
	v_fma_f32 v0, v0, -v2, v4
	v_fma_f32 v0, v0, -v2, -v2
	v_cndmask_b32_e32 v0, v0, v3, vcc
	v_xor_b32_e32 v0, v31, v0
	v_xor_b32_e32 v0, v0, v28
	v_cndmask_b32_e64 v28, v13, v0, s[26:27]
	v_and_b32_e32 v0, 0x7fffffff, v28
	v_lshrrev_b32_e32 v1, 23, v0
	v_add_u32_e32 v1, 0xffffff88, v1
	v_cmp_lt_u32_e32 vcc, 63, v1
	v_cndmask_b32_e32 v2, 0, v35, vcc
	v_add_u32_e32 v1, v2, v1
	v_cmp_lt_u32_e64 s[8:9], 31, v1
	v_cndmask_b32_e64 v2, 0, v39, s[8:9]
	v_add_u32_e32 v1, v2, v1
	v_cmp_lt_u32_e64 s[10:11], 31, v1
	v_cndmask_b32_e64 v2, 0, v39, s[10:11]
	v_add_u32_e32 v6, v2, v1
	v_and_b32_e32 v1, 0x7fffff, v0
	v_or_b32_e32 v8, 0x800000, v1
	v_mad_u64_u32 v[3:4], s[4:5], v8, s83, 0
	v_cmp_eq_u32_e64 s[12:13], 0, v6
	v_cmp_lt_f32_e64 s[22:23], |v28|, s82
	v_mad_u64_u32 v[26:27], s[4:5], v8, s84, v[4:5]
	v_cmp_class_f32_e64 s[30:31], v28, s93
	v_mov_b32_e32 v4, v27
	v_mad_u64_u32 v[18:19], s[4:5], v8, s85, v[4:5]
	v_mov_b32_e32 v4, v19
	v_mad_u64_u32 v[48:49], s[4:5], v8, s86, v[4:5]
	v_cndmask_b32_e32 v3, v18, v3, vcc
	v_mov_b32_e32 v4, v49
	v_mad_u64_u32 v[1:2], s[4:5], v8, s87, v[4:5]
	v_mov_b32_e32 v4, v2
	v_mad_u64_u32 v[55:56], s[4:5], v8, s88, v[4:5]
	;; [unrolled: 2-line block ×3, first 2 shown]
	v_cndmask_b32_e32 v2, v55, v48, vcc
	v_cndmask_b32_e32 v4, v24, v1, vcc
	;; [unrolled: 1-line block ×3, first 2 shown]
	v_cndmask_b32_e64 v8, v4, v2, s[8:9]
	v_cndmask_b32_e64 v4, v19, v4, s[8:9]
	v_cndmask_b32_e32 v19, v1, v18, vcc
	v_cndmask_b32_e64 v24, v2, v19, s[8:9]
	v_cndmask_b32_e64 v4, v4, v8, s[10:11]
	;; [unrolled: 1-line block ×3, first 2 shown]
	v_sub_u32_e32 v2, 32, v6
	v_alignbit_b32 v1, v4, v8, v2
	v_cndmask_b32_e64 v1, v1, v4, s[12:13]
	v_cndmask_b32_e32 v4, v48, v26, vcc
	v_cndmask_b32_e64 v6, v19, v4, s[8:9]
	v_cndmask_b32_e64 v19, v24, v6, s[10:11]
	v_alignbit_b32 v24, v8, v19, v2
	v_cndmask_b32_e64 v8, v24, v8, s[12:13]
	v_bfe_u32 v26, v1, 29, 1
	v_cndmask_b32_e64 v3, v4, v3, s[8:9]
	v_alignbit_b32 v24, v1, v8, 30
	v_sub_u32_e32 v27, 0, v26
	v_cndmask_b32_e64 v3, v6, v3, s[10:11]
	v_xor_b32_e32 v24, v24, v27
	v_alignbit_b32 v2, v19, v3, v2
	v_cndmask_b32_e64 v2, v2, v19, s[12:13]
	v_ffbh_u32_e32 v6, v24
	v_alignbit_b32 v4, v8, v2, 30
	v_min_u32_e32 v6, 32, v6
	v_alignbit_b32 v2, v2, v3, 30
	v_xor_b32_e32 v4, v4, v27
	v_sub_u32_e32 v8, 31, v6
	v_xor_b32_e32 v2, v2, v27
	v_alignbit_b32 v18, v24, v4, v8
	v_alignbit_b32 v2, v4, v2, v8
	;; [unrolled: 1-line block ×3, first 2 shown]
	v_ffbh_u32_e32 v4, v3
	v_min_u32_e32 v4, 32, v4
	v_lshrrev_b32_e32 v25, 29, v1
	v_not_b32_e32 v8, v4
	v_alignbit_b32 v2, v3, v2, v8
	v_lshlrev_b32_e32 v3, 31, v25
	v_or_b32_e32 v8, 0x33000000, v3
	v_add_lshl_u32 v4, v4, v6, 23
	v_lshrrev_b32_e32 v2, 9, v2
	v_sub_u32_e32 v4, v8, v4
	v_or_b32_e32 v3, 0.5, v3
	v_lshlrev_b32_e32 v6, 23, v6
	v_or_b32_e32 v2, v4, v2
	v_lshrrev_b32_e32 v4, 9, v18
	v_sub_u32_e32 v3, v3, v6
	v_or_b32_e32 v3, v4, v3
	v_mul_f32_e32 v4, 0x3fc90fda, v3
	v_lshrrev_b32_e32 v1, 30, v1
	v_fma_f32 v6, v3, s90, -v4
	v_add_u32_e32 v53, v26, v1
	v_mul_f32_e64 v1, |v28|, s91
	v_fmac_f32_e32 v6, 0x33a22168, v3
	v_rndne_f32_e32 v1, v1
	v_fmac_f32_e32 v6, 0x3fc90fda, v2
	v_fma_f32 v32, v1, s92, |v28|
	v_add_f32_e32 v2, v4, v6
	v_fmac_f32_e32 v32, 0xb3a22168, v1
	buffer_store_dword v2, off, s[96:99], 0 offset:72 ; 4-byte Folded Spill
	v_fmac_f32_e32 v32, 0xa7c234c4, v1
	v_cvt_i32_f32_e32 v8, v1
	buffer_load_dword v1, off, s[96:99], 0 offset:48 ; 4-byte Folded Reload
	buffer_load_dword v2, off, s[96:99], 0 offset:52 ; 4-byte Folded Reload
	;; [unrolled: 1-line block ×3, first 2 shown]
	v_mov_b32_e32 v6, 0xbf039337
	v_mov_b32_e32 v4, 0x3ec54587
	s_waitcnt vmcnt(2)
	v_cndmask_b32_e64 v1, v1, v52, s[16:17]
	s_waitcnt vmcnt(0)
	v_cndmask_b32_e64 v2, v2, v3, s[16:17]
	v_mul_f32_e32 v3, v1, v1
	v_fmac_f32_e32 v6, 0x3c971480, v3
	v_fma_f32 v6, v3, v6, v51
	v_rcp_f32_e32 v6, v6
	v_fmac_f32_e32 v4, 0xbc8cedd3, v3
	v_and_b32_e32 v2, 1, v2
	v_cmp_eq_u32_e32 vcc, 0, v2
	v_mul_f32_e32 v4, v4, v6
	v_mul_f32_e32 v3, v3, v4
	v_fma_f32 v4, v3, v1, v1
	v_sub_f32_e32 v6, v4, v1
	v_fma_f32 v1, v3, v1, -v6
	v_rcp_f32_e32 v3, v4
	v_mul_f32_e32 v2, 0x40400000, v41
	v_fma_f32 v6, v4, -v3, 1.0
	v_fma_f32 v1, v1, -v3, v6
	v_fma_f32 v1, v1, -v3, -v3
	v_cndmask_b32_e32 v1, v1, v4, vcc
	v_xor_b32_e32 v1, v2, v1
	v_xor_b32_e32 v1, v1, v29
	v_cndmask_b32_e64 v29, v13, v1, s[18:19]
	v_and_b32_e32 v31, 0x7fffffff, v29
	v_lshrrev_b32_e32 v1, 23, v31
	v_add_u32_e32 v1, 0xffffff88, v1
	v_cmp_lt_u32_e32 vcc, 63, v1
	v_cndmask_b32_e32 v2, 0, v35, vcc
	v_add_u32_e32 v1, v2, v1
	v_cmp_lt_u32_e64 s[8:9], 31, v1
	v_cndmask_b32_e64 v2, 0, v39, s[8:9]
	v_add_u32_e32 v1, v2, v1
	v_cmp_lt_u32_e64 s[10:11], 31, v1
	v_cndmask_b32_e64 v2, 0, v39, s[10:11]
	v_add_u32_e32 v6, v2, v1
	v_and_b32_e32 v1, 0x7fffff, v31
	v_or_b32_e32 v26, 0x800000, v1
	v_mad_u64_u32 v[3:4], s[4:5], v26, s83, 0
	v_cmp_eq_u32_e64 s[12:13], 0, v6
	v_cmp_lt_f32_e64 s[38:39], |v29|, s82
	v_mad_u64_u32 v[48:49], s[4:5], v26, s84, v[4:5]
	v_cmp_class_f32_e64 s[42:43], v29, s93
	v_mov_b32_e32 v4, v49
	v_mad_u64_u32 v[18:19], s[4:5], v26, s85, v[4:5]
	v_mov_b32_e32 v49, v37
	v_mov_b32_e32 v4, v19
	v_mad_u64_u32 v[55:56], s[4:5], v26, s86, v[4:5]
	v_cndmask_b32_e32 v3, v18, v3, vcc
	v_mov_b32_e32 v4, v56
	v_mad_u64_u32 v[1:2], s[4:5], v26, s87, v[4:5]
	v_mov_b32_e32 v4, v2
	v_mad_u64_u32 v[24:25], s[4:5], v26, s88, v[4:5]
	;; [unrolled: 2-line block ×3, first 2 shown]
	v_cndmask_b32_e32 v2, v24, v55, vcc
	v_cndmask_b32_e32 v4, v25, v1, vcc
	;; [unrolled: 1-line block ×3, first 2 shown]
	v_cndmask_b32_e64 v19, v4, v2, s[8:9]
	v_cndmask_b32_e64 v4, v24, v4, s[8:9]
	v_cndmask_b32_e32 v24, v1, v18, vcc
	v_cndmask_b32_e64 v25, v2, v24, s[8:9]
	v_cndmask_b32_e64 v4, v4, v19, s[10:11]
	;; [unrolled: 1-line block ×3, first 2 shown]
	v_sub_u32_e32 v2, 32, v6
	v_alignbit_b32 v1, v4, v19, v2
	v_cndmask_b32_e64 v1, v1, v4, s[12:13]
	v_cndmask_b32_e32 v4, v55, v48, vcc
	v_cndmask_b32_e64 v6, v24, v4, s[8:9]
	v_cndmask_b32_e64 v24, v25, v6, s[10:11]
	v_alignbit_b32 v25, v19, v24, v2
	v_cndmask_b32_e64 v19, v25, v19, s[12:13]
	v_bfe_u32 v27, v1, 29, 1
	v_cndmask_b32_e64 v3, v4, v3, s[8:9]
	v_alignbit_b32 v25, v1, v19, 30
	v_sub_u32_e32 v35, 0, v27
	v_cndmask_b32_e64 v3, v6, v3, s[10:11]
	v_xor_b32_e32 v25, v25, v35
	v_alignbit_b32 v2, v24, v3, v2
	v_cndmask_b32_e64 v2, v2, v24, s[12:13]
	v_ffbh_u32_e32 v6, v25
	v_alignbit_b32 v4, v19, v2, 30
	v_min_u32_e32 v6, 32, v6
	v_alignbit_b32 v2, v2, v3, 30
	v_xor_b32_e32 v4, v4, v35
	v_sub_u32_e32 v18, 31, v6
	v_xor_b32_e32 v2, v2, v35
	v_alignbit_b32 v19, v25, v4, v18
	v_alignbit_b32 v2, v4, v2, v18
	;; [unrolled: 1-line block ×3, first 2 shown]
	v_ffbh_u32_e32 v4, v3
	v_min_u32_e32 v4, 32, v4
	v_lshrrev_b32_e32 v26, 29, v1
	v_not_b32_e32 v18, v4
	v_alignbit_b32 v2, v3, v2, v18
	v_lshlrev_b32_e32 v3, 31, v26
	v_or_b32_e32 v18, 0x33000000, v3
	v_add_lshl_u32 v4, v4, v6, 23
	v_lshrrev_b32_e32 v2, 9, v2
	v_sub_u32_e32 v4, v18, v4
	v_or_b32_e32 v3, 0.5, v3
	v_lshlrev_b32_e32 v6, 23, v6
	v_lshrrev_b32_e32 v1, 30, v1
	v_or_b32_e32 v2, v4, v2
	v_lshrrev_b32_e32 v4, 9, v19
	v_sub_u32_e32 v3, v3, v6
	v_add_u32_e32 v42, v27, v1
	v_mul_f32_e64 v1, |v29|, s91
	v_or_b32_e32 v3, v4, v3
	v_rndne_f32_e32 v1, v1
	v_mul_f32_e32 v4, 0x3fc90fda, v3
	v_fma_f32 v45, v1, s92, |v29|
	v_fma_f32 v6, v3, s90, -v4
	v_fmac_f32_e32 v45, 0xb3a22168, v1
	v_fmac_f32_e32 v6, 0x33a22168, v3
	;; [unrolled: 1-line block ×3, first 2 shown]
	v_cvt_i32_f32_e32 v52, v1
	buffer_load_dword v1, off, s[96:99], 0 offset:60 ; 4-byte Folded Reload
	v_fmac_f32_e32 v6, 0x3fc90fda, v2
	buffer_load_dword v2, off, s[96:99], 0 offset:64 ; 4-byte Folded Reload
	buffer_load_dword v3, off, s[96:99], 0 offset:68 ; 4-byte Folded Reload
	v_add_f32_e32 v40, v4, v6
	v_mov_b32_e32 v4, 0x3c0881c4
	v_mov_b32_e32 v27, 0x40400000
	;; [unrolled: 1-line block ×3, first 2 shown]
	s_waitcnt vmcnt(2)
	v_cndmask_b32_e64 v1, v1, v61, s[20:21]
	s_waitcnt vmcnt(0)
	v_cndmask_b32_e64 v2, v2, v3, s[20:21]
	v_mul_f32_e32 v3, v1, v1
	v_fmac_f32_e32 v4, 0xb94c1982, v3
	v_fma_f32 v4, v3, v4, v7
	v_mul_f32_e32 v4, v3, v4
	v_fmac_f32_e32 v1, v1, v4
	v_mov_b32_e32 v4, 0xbab64f3b
	v_fmac_f32_e32 v4, 0x37d75334, v3
	v_fma_f32 v4, v3, v4, v23
	v_fma_f32 v4, v3, v4, v58
	v_fma_f32 v3, v3, v4, 1.0
	v_and_b32_e32 v4, 1, v2
	v_cmp_eq_u32_e32 vcc, 0, v4
	v_lshlrev_b32_e32 v2, 30, v2
	v_cndmask_b32_e32 v1, v3, v1, vcc
	v_and_b32_e32 v2, 0x80000000, v2
	v_add_f32_e32 v3, v36, v20
	v_xor_b32_e32 v2, v2, v3
	v_xor_b32_e32 v1, v2, v1
	;; [unrolled: 1-line block ×3, first 2 shown]
	v_cndmask_b32_e64 v1, v13, v1, s[28:29]
	v_cmp_eq_f32_e32 vcc, 1.0, v1
	v_frexp_mant_f32_e64 v3, |v1|
	v_cndmask_b32_e64 v2, v27, 1.0, vcc
	v_cmp_gt_f32_e32 vcc, s3, v3
	v_cndmask_b32_e64 v4, 1.0, 2.0, vcc
	v_mul_f32_e32 v3, v3, v4
	v_add_f32_e32 v6, 1.0, v3
	v_add_f32_e32 v18, -1.0, v6
	v_add_f32_e32 v4, -1.0, v3
	v_sub_f32_e32 v3, v3, v18
	v_rcp_f32_e32 v18, v6
	v_cmp_gt_f32_e64 s[10:11], 0, v1
	v_cmp_class_f32_e64 s[4:5], v1, s81
	v_mul_f32_e32 v19, v4, v18
	v_mul_f32_e32 v24, v6, v19
	v_fma_f32 v6, v19, v6, -v24
	v_fmac_f32_e32 v6, v19, v3
	v_add_f32_e32 v3, v24, v6
	v_sub_f32_e32 v25, v4, v3
	v_sub_f32_e32 v24, v3, v24
	;; [unrolled: 1-line block ×5, first 2 shown]
	v_add_f32_e32 v3, v4, v3
	v_add_f32_e32 v3, v25, v3
	v_mul_f32_e32 v3, v18, v3
	v_add_f32_e32 v6, v19, v3
	v_sub_f32_e32 v4, v6, v19
	v_sub_f32_e32 v18, v3, v4
	v_mul_f32_e32 v3, v6, v6
	v_fma_f32 v4, v6, v6, -v3
	v_add_f32_e32 v19, v18, v18
	v_fmac_f32_e32 v4, v6, v19
	v_add_f32_e32 v19, v3, v4
	v_sub_f32_e32 v3, v19, v3
	v_sub_f32_e32 v3, v4, v3
	v_mul_f32_e32 v4, v6, v19
	v_fma_f32 v25, v19, v6, -v4
	v_fmac_f32_e32 v25, v19, v18
	v_mov_b32_e32 v24, 0x3e91f4c4
	v_fmac_f32_e32 v25, v3, v6
	v_fmac_f32_e32 v24, 0x3e76c4e1, v19
	v_add_f32_e32 v26, v4, v25
	v_fma_f32 v24, v19, v24, v9
	v_sub_f32_e32 v4, v26, v4
	v_sub_f32_e32 v4, v25, v4
	v_mul_f32_e32 v25, v19, v24
	v_fma_f32 v19, v19, v24, -v25
	v_fmac_f32_e32 v19, v3, v24
	v_add_f32_e32 v3, v25, v19
	v_add_f32_e32 v24, 0x3f2aaaaa, v3
	v_sub_f32_e32 v25, v3, v25
	v_sub_f32_e32 v19, v19, v25
	v_add_f32_e32 v25, 0xbf2aaaaa, v24
	v_add_f32_e32 v19, 0x31739010, v19
	v_sub_f32_e32 v3, v3, v25
	v_add_f32_e32 v3, v19, v3
	v_add_f32_e32 v19, v24, v3
	v_sub_f32_e32 v24, v24, v19
	v_add_f32_e32 v3, v3, v24
	v_mul_f32_e32 v24, v26, v19
	v_fma_f32 v25, v26, v19, -v24
	v_fmac_f32_e32 v25, v26, v3
	v_fmac_f32_e32 v25, v4, v19
	v_cvt_f64_f32_e64 v[3:4], |v1|
	v_ldexp_f32 v6, v6, 1
	v_frexp_exp_i32_f64_e32 v3, v[3:4]
	v_subbrev_co_u32_e32 v3, vcc, 0, v3, vcc
	v_cvt_f32_i32_e32 v3, v3
	v_mul_f32_e32 v4, 0x3f317218, v3
	v_fma_f32 v19, v3, s94, -v4
	v_fmac_f32_e32 v19, 0xb102e308, v3
	v_ldexp_f32 v3, v18, 1
	v_add_f32_e32 v18, v4, v19
	v_sub_f32_e32 v4, v18, v4
	v_sub_f32_e32 v4, v19, v4
	v_add_f32_e32 v19, v24, v25
	v_sub_f32_e32 v24, v19, v24
	v_sub_f32_e32 v24, v25, v24
	;; [unrolled: 3-line block ×3, first 2 shown]
	v_add_f32_e32 v3, v3, v24
	v_add_f32_e32 v3, v3, v6
	;; [unrolled: 1-line block ×3, first 2 shown]
	v_sub_f32_e32 v19, v6, v25
	v_sub_f32_e32 v3, v3, v19
	v_add_f32_e32 v19, v18, v6
	v_sub_f32_e32 v24, v19, v18
	v_sub_f32_e32 v25, v19, v24
	;; [unrolled: 1-line block ×4, first 2 shown]
	v_add_f32_e32 v6, v6, v18
	v_add_f32_e32 v18, v4, v3
	v_sub_f32_e32 v24, v18, v4
	v_sub_f32_e32 v25, v18, v24
	;; [unrolled: 1-line block ×4, first 2 shown]
	v_add_f32_e32 v3, v3, v4
	v_add_f32_e32 v4, v18, v6
	;; [unrolled: 1-line block ×3, first 2 shown]
	v_sub_f32_e32 v18, v6, v19
	v_sub_f32_e32 v4, v4, v18
	v_add_f32_e32 v3, v3, v4
	v_add_f32_e32 v4, v6, v3
	v_sub_f32_e32 v6, v4, v6
	v_sub_f32_e32 v3, v3, v6
	v_mul_f32_e32 v6, v2, v4
	v_fma_f32 v4, v2, v4, -v6
	v_fmac_f32_e32 v4, v2, v3
	v_add_f32_e32 v3, v6, v4
	v_cmp_class_f32_e64 vcc, v6, s81
	v_sub_f32_e32 v18, v3, v6
	v_cndmask_b32_e32 v3, v3, v6, vcc
	v_sub_f32_e32 v4, v4, v18
	v_cmp_neq_f32_e64 vcc, |v3|, s79
	v_cndmask_b32_e32 v4, 0, v4, vcc
	v_cmp_eq_f32_e32 vcc, s2, v3
	v_cndmask_b32_e32 v6, 0, v10, vcc
	v_sub_f32_e32 v3, v3, v6
	v_add_f32_e32 v4, v6, v4
	v_mul_f32_e32 v6, 0x3fb8aa3b, v3
	v_fma_f32 v18, v3, s95, -v6
	v_rndne_f32_e32 v19, v6
	v_fmac_f32_e32 v18, 0x32a5705f, v3
	v_sub_f32_e32 v6, v6, v19
	v_add_f32_e32 v6, v6, v18
	v_exp_f32_e32 v6, v6
	v_cvt_i32_f32_e32 v18, v19
	v_cmp_ngt_f32_e32 vcc, s33, v3
	v_ldexp_f32 v6, v6, v18
	v_cndmask_b32_e32 v6, 0, v6, vcc
	v_cmp_nlt_f32_e32 vcc, s2, v3
	v_cndmask_b32_e32 v3, v60, v6, vcc
	v_fma_f32 v4, v3, v4, v3
	v_cmp_class_f32_e64 vcc, v3, s81
	v_cndmask_b32_e32 v3, v4, v3, vcc
	v_trunc_f32_e32 v4, v2
	v_cmp_eq_f32_e32 vcc, v4, v2
	v_mul_f32_e32 v2, 0.5, v2
	v_trunc_f32_e32 v4, v2
	v_cmp_neq_f32_e64 s[8:9], v4, v2
	s_and_b64 s[8:9], vcc, s[8:9]
	v_cndmask_b32_e64 v2, 1.0, v1, s[8:9]
	v_bfi_b32 v2, s80, v3, v2
	v_cndmask_b32_e32 v3, v13, v2, vcc
	v_cmp_eq_f32_e32 vcc, 0, v1
	v_cndmask_b32_e64 v2, v2, v3, s[10:11]
	v_cndmask_b32_e64 v3, v60, 0, vcc
	v_cndmask_b32_e64 v4, 0, v1, s[8:9]
	s_or_b64 s[10:11], vcc, s[4:5]
	v_bfi_b32 v3, s80, v3, v4
	v_cndmask_b32_e64 v2, v2, v3, s[10:11]
	buffer_load_dword v3, off, s[96:99], 0 offset:96 ; 4-byte Folded Reload
	buffer_load_dword v4, off, s[96:99], 0 offset:100 ; 4-byte Folded Reload
	;; [unrolled: 1-line block ×3, first 2 shown]
	v_cmp_o_f32_e32 vcc, v1, v1
	v_cndmask_b32_e32 v2, v13, v2, vcc
	v_mul_f32_e32 v1, v36, v1
	s_waitcnt vmcnt(2)
	v_cndmask_b32_e64 v3, v3, v11, s[34:35]
	s_waitcnt vmcnt(0)
	v_cndmask_b32_e64 v6, v4, v6, s[34:35]
	v_mul_f32_e32 v4, v3, v3
	v_mov_b32_e32 v11, 0x3c0881c4
	v_fmac_f32_e32 v11, 0xb94c1982, v4
	v_fma_f32 v11, v4, v11, v7
	v_mul_f32_e32 v11, v4, v11
	v_fmac_f32_e32 v3, v3, v11
	v_mov_b32_e32 v11, 0xbab64f3b
	v_fmac_f32_e32 v11, 0x37d75334, v4
	v_fma_f32 v11, v4, v11, v23
	v_fma_f32 v11, v4, v11, v58
	v_fma_f32 v4, v4, v11, 1.0
	v_and_b32_e32 v11, 1, v6
	v_cmp_eq_u32_e64 s[8:9], 0, v11
	v_cndmask_b32_e64 v11, v4, v3, s[8:9]
	v_lshlrev_b32_e32 v6, 30, v6
	v_xor_b32_e32 v11, v57, v11
	v_and_b32_e32 v6, 0x80000000, v6
	v_xor_b32_e32 v11, v11, v38
	v_xor_b32_e32 v11, v11, v6
	v_cndmask_b32_e64 v11, v13, v11, s[36:37]
	v_cmp_eq_f32_e32 vcc, 1.0, v11
	v_frexp_mant_f32_e64 v19, |v11|
	v_cndmask_b32_e64 v18, v27, 1.0, vcc
	v_cmp_gt_f32_e32 vcc, s3, v19
	v_cndmask_b32_e64 v24, 1.0, 2.0, vcc
	v_mul_f32_e32 v19, v19, v24
	v_add_f32_e32 v25, 1.0, v19
	v_add_f32_e32 v26, -1.0, v25
	v_add_f32_e32 v24, -1.0, v19
	v_sub_f32_e32 v19, v19, v26
	v_rcp_f32_e32 v26, v25
	v_cmp_gt_f32_e64 s[12:13], 0, v11
	v_cmp_class_f32_e64 s[4:5], v11, s81
	v_mov_b32_e32 v57, 0xbe2aaa9d
	v_mul_f32_e32 v27, v24, v26
	v_mul_f32_e32 v35, v25, v27
	v_fma_f32 v25, v27, v25, -v35
	v_fmac_f32_e32 v25, v27, v19
	v_add_f32_e32 v19, v35, v25
	v_sub_f32_e32 v38, v24, v19
	v_sub_f32_e32 v35, v19, v35
	;; [unrolled: 1-line block ×5, first 2 shown]
	v_add_f32_e32 v19, v24, v19
	v_add_f32_e32 v19, v38, v19
	v_mul_f32_e32 v19, v26, v19
	v_add_f32_e32 v26, v27, v19
	v_sub_f32_e32 v24, v26, v27
	v_sub_f32_e32 v19, v19, v24
	v_mul_f32_e32 v24, v26, v26
	v_fma_f32 v25, v26, v26, -v24
	v_add_f32_e32 v27, v19, v19
	v_fmac_f32_e32 v25, v26, v27
	v_add_f32_e32 v27, v24, v25
	v_sub_f32_e32 v24, v27, v24
	v_sub_f32_e32 v24, v25, v24
	v_mul_f32_e32 v25, v26, v27
	v_fma_f32 v38, v27, v26, -v25
	v_fmac_f32_e32 v38, v27, v19
	v_mov_b32_e32 v35, 0x3e91f4c4
	v_fmac_f32_e32 v38, v24, v26
	v_fmac_f32_e32 v35, 0x3e76c4e1, v27
	v_add_f32_e32 v43, v25, v38
	v_fma_f32 v35, v27, v35, v9
	v_sub_f32_e32 v25, v43, v25
	v_sub_f32_e32 v25, v38, v25
	v_mul_f32_e32 v38, v27, v35
	v_fma_f32 v27, v27, v35, -v38
	v_fmac_f32_e32 v27, v24, v35
	v_add_f32_e32 v24, v38, v27
	v_add_f32_e32 v35, 0x3f2aaaaa, v24
	v_sub_f32_e32 v38, v24, v38
	v_sub_f32_e32 v27, v27, v38
	v_add_f32_e32 v38, 0xbf2aaaaa, v35
	v_add_f32_e32 v27, 0x31739010, v27
	v_sub_f32_e32 v24, v24, v38
	v_add_f32_e32 v24, v27, v24
	v_add_f32_e32 v27, v35, v24
	v_sub_f32_e32 v35, v35, v27
	v_add_f32_e32 v24, v24, v35
	v_mul_f32_e32 v35, v43, v27
	v_fma_f32 v38, v43, v27, -v35
	v_fmac_f32_e32 v38, v43, v24
	v_fmac_f32_e32 v38, v25, v27
	v_cvt_f64_f32_e64 v[24:25], |v11|
	v_ldexp_f32 v19, v19, 1
	v_frexp_exp_i32_f64_e32 v24, v[24:25]
	v_subbrev_co_u32_e32 v24, vcc, 0, v24, vcc
	v_cvt_f32_i32_e32 v24, v24
	v_mul_f32_e32 v25, 0x3f317218, v24
	v_fma_f32 v27, v24, s94, -v25
	v_fmac_f32_e32 v27, 0xb102e308, v24
	v_ldexp_f32 v24, v26, 1
	v_add_f32_e32 v26, v25, v27
	v_sub_f32_e32 v25, v26, v25
	v_sub_f32_e32 v25, v27, v25
	v_add_f32_e32 v27, v35, v38
	v_sub_f32_e32 v35, v27, v35
	v_sub_f32_e32 v35, v38, v35
	;; [unrolled: 3-line block ×3, first 2 shown]
	v_add_f32_e32 v19, v19, v35
	v_add_f32_e32 v19, v19, v24
	;; [unrolled: 1-line block ×3, first 2 shown]
	v_sub_f32_e32 v27, v24, v38
	v_sub_f32_e32 v19, v19, v27
	v_add_f32_e32 v27, v26, v24
	v_sub_f32_e32 v35, v27, v26
	v_sub_f32_e32 v38, v27, v35
	;; [unrolled: 1-line block ×4, first 2 shown]
	v_add_f32_e32 v24, v24, v26
	v_add_f32_e32 v26, v25, v19
	v_sub_f32_e32 v35, v26, v25
	v_sub_f32_e32 v38, v26, v35
	;; [unrolled: 1-line block ×4, first 2 shown]
	v_add_f32_e32 v24, v26, v24
	v_add_f32_e32 v19, v19, v25
	;; [unrolled: 1-line block ×3, first 2 shown]
	v_sub_f32_e32 v26, v25, v27
	v_sub_f32_e32 v24, v24, v26
	v_add_f32_e32 v19, v19, v24
	v_add_f32_e32 v24, v25, v19
	v_sub_f32_e32 v25, v24, v25
	v_sub_f32_e32 v19, v19, v25
	v_mul_f32_e32 v25, v18, v24
	v_fma_f32 v24, v18, v24, -v25
	v_fmac_f32_e32 v24, v18, v19
	v_add_f32_e32 v19, v25, v24
	v_cmp_class_f32_e64 vcc, v25, s81
	v_sub_f32_e32 v26, v19, v25
	v_cndmask_b32_e32 v19, v19, v25, vcc
	v_sub_f32_e32 v24, v24, v26
	v_cmp_neq_f32_e64 vcc, |v19|, s79
	v_cndmask_b32_e32 v24, 0, v24, vcc
	v_cmp_eq_f32_e32 vcc, s2, v19
	v_cndmask_b32_e32 v25, 0, v10, vcc
	v_sub_f32_e32 v19, v19, v25
	v_add_f32_e32 v24, v25, v24
	v_mul_f32_e32 v25, 0x3fb8aa3b, v19
	v_fma_f32 v26, v19, s95, -v25
	v_rndne_f32_e32 v27, v25
	v_fmac_f32_e32 v26, 0x32a5705f, v19
	v_sub_f32_e32 v25, v25, v27
	v_add_f32_e32 v25, v25, v26
	v_exp_f32_e32 v25, v25
	v_cvt_i32_f32_e32 v26, v27
	v_cmp_ngt_f32_e32 vcc, s33, v19
	v_ldexp_f32 v25, v25, v26
	v_cndmask_b32_e32 v25, 0, v25, vcc
	v_cmp_nlt_f32_e32 vcc, s2, v19
	v_cndmask_b32_e32 v19, v60, v25, vcc
	v_fma_f32 v24, v19, v24, v19
	v_cmp_class_f32_e64 vcc, v19, s81
	v_cndmask_b32_e32 v19, v24, v19, vcc
	v_trunc_f32_e32 v24, v18
	v_cmp_eq_f32_e32 vcc, v24, v18
	v_mul_f32_e32 v18, 0.5, v18
	v_trunc_f32_e32 v24, v18
	v_cmp_neq_f32_e64 s[10:11], v24, v18
	s_and_b64 s[10:11], vcc, s[10:11]
	v_cndmask_b32_e64 v18, 1.0, v11, s[10:11]
	v_bfi_b32 v18, s80, v19, v18
	v_cndmask_b32_e32 v19, v13, v18, vcc
	v_cmp_eq_f32_e32 vcc, 0, v11
	v_cndmask_b32_e64 v18, v18, v19, s[12:13]
	v_cndmask_b32_e64 v19, v60, 0, vcc
	v_cndmask_b32_e64 v24, 0, v11, s[10:11]
	s_or_b64 s[12:13], vcc, s[4:5]
	v_bfi_b32 v19, s80, v19, v24
	v_cndmask_b32_e64 v18, v18, v19, s[12:13]
	v_cmp_o_f32_e32 vcc, v11, v11
	v_cndmask_b32_e32 v11, v13, v18, vcc
	v_add_f32_e32 v18, v2, v11
	v_sub_f32_e32 v2, v2, v11
	v_mul_f32_e32 v2, v36, v2
	buffer_store_dword v2, off, s[96:99], 0 offset:44 ; 4-byte Folded Spill
	buffer_load_dword v2, off, s[96:99], 0 offset:124 ; 4-byte Folded Reload
	v_mul_f32_e32 v7, v36, v18
	buffer_store_dword v7, off, s[96:99], 0 offset:40 ; 4-byte Folded Spill
	buffer_load_dword v7, off, s[96:99], 0 offset:128 ; 4-byte Folded Reload
	s_nop 0
	buffer_load_dword v9, off, s[96:99], 0 offset:136 ; 4-byte Folded Reload
	v_mov_b32_e32 v19, 0x3c0881c4
	s_waitcnt vmcnt(3)
	v_cndmask_b32_e64 v2, v2, v30, s[40:41]
	v_mul_f32_e32 v18, v2, v2
	v_fmac_f32_e32 v19, 0xb94c1982, v18
	v_fma_f32 v19, v18, v19, v57
	v_mul_f32_e32 v19, v18, v19
	v_fmac_f32_e32 v2, v2, v19
	v_mov_b32_e32 v19, 0xbab64f3b
	v_fmac_f32_e32 v19, 0x37d75334, v18
	v_fma_f32 v19, v18, v19, v23
	s_waitcnt vmcnt(0)
	v_cndmask_b32_e64 v11, v7, v9, s[40:41]
	v_fma_f32 v19, v18, v19, v58
	v_fma_f32 v18, v18, v19, 1.0
	v_and_b32_e32 v19, 1, v11
	v_cmp_eq_u32_e32 vcc, 0, v19
	v_lshlrev_b32_e32 v11, 30, v11
	v_cndmask_b32_e64 v19, -v2, v18, vcc
	v_and_b32_e32 v11, 0x80000000, v11
	v_xor_b32_e32 v19, v11, v19
	v_cndmask_b32_e64 v19, v13, v19, s[44:45]
	v_mul_f32_e32 v7, v19, v62
	v_cndmask_b32_e32 v2, v18, v2, vcc
	buffer_store_dword v7, off, s[96:99], 0 offset:52 ; 4-byte Folded Spill
	v_xor_b32_e32 v2, v36, v2
	v_and_b32_e32 v7, 0x7fffffff, v36
	v_xor_b32_e32 v2, v2, v7
	v_xor_b32_e32 v2, v2, v11
	v_cndmask_b32_e64 v11, v13, v2, s[44:45]
	v_mul_f32_e32 v2, v11, v37
	v_add_f32_e32 v11, v11, v37
	v_mul_f32_e32 v7, v36, v11
	v_sub_f32_e32 v11, v62, v19
	buffer_store_dword v2, off, s[96:99], 0 offset:56 ; 4-byte Folded Spill
	buffer_store_dword v7, off, s[96:99], 0 offset:60 ; 4-byte Folded Spill
	;; [unrolled: 1-line block ×3, first 2 shown]
	v_mul_f32_e32 v7, v36, v11
	buffer_store_dword v7, off, s[96:99], 0 offset:64 ; 4-byte Folded Spill
	buffer_load_dword v7, off, s[96:99], 0 offset:144 ; 4-byte Folded Reload
	v_div_scale_f32 v2, s[4:5], v36, v36, v62
	v_not_b32_e32 v30, 63
	v_rcp_f32_e32 v18, v2
	v_fma_f32 v24, -v2, v18, 1.0
	v_fmac_f32_e32 v18, v24, v18
	v_div_scale_f32 v24, vcc, v62, v36, v62
	v_mul_f32_e32 v25, v24, v18
	v_fma_f32 v26, -v2, v25, v24
	v_fmac_f32_e32 v25, v26, v18
	v_fma_f32 v2, -v2, v25, v24
	v_mov_b32_e32 v24, 0x3c0881c4
	v_div_fmas_f32 v2, v2, v18, v25
	v_not_b32_e32 v25, 63
	v_div_fixup_f32 v2, v2, v36, v62
	s_waitcnt vmcnt(0)
	v_cndmask_b32_e64 v11, v7, v44, s[46:47]
	buffer_load_dword v7, off, s[96:99], 0 offset:148 ; 4-byte Folded Reload
	buffer_load_dword v9, off, s[96:99], 0 offset:152 ; 4-byte Folded Reload
	v_mul_f32_e32 v19, v11, v11
	v_fmac_f32_e32 v24, 0xb94c1982, v19
	v_fma_f32 v24, v19, v24, v57
	v_mul_f32_e32 v24, v19, v24
	v_fmac_f32_e32 v11, v11, v24
	v_mov_b32_e32 v24, 0xbab64f3b
	v_fmac_f32_e32 v24, 0x37d75334, v19
	v_fma_f32 v24, v19, v24, v23
	v_fma_f32 v24, v19, v24, v58
	v_fma_f32 v19, v19, v24, 1.0
	buffer_store_dword v1, off, s[96:99], 0 offset:80 ; 4-byte Folded Spill
	v_cndmask_b32_e64 v1, -v3, v4, s[8:9]
	v_xor_b32_e32 v1, v6, v1
	v_cndmask_b32_e64 v1, v13, v1, s[36:37]
	v_mul_f32_e32 v1, v36, v1
	buffer_store_dword v1, off, s[96:99], 0 offset:96 ; 4-byte Folded Spill
	buffer_load_dword v1, off, s[96:99], 0 offset:176 ; 4-byte Folded Reload
	v_mov_b32_e32 v6, 0x3c0881c4
	v_cndmask_b32_e64 v3, v46, v22, s[58:59]
	s_waitcnt vmcnt(3)
	v_cndmask_b32_e64 v18, v7, v9, s[46:47]
	v_and_b32_e32 v24, 1, v18
	v_cmp_eq_u32_e32 vcc, 0, v24
	v_cndmask_b32_e32 v24, v19, v11, vcc
	v_lshlrev_b32_e32 v18, 30, v18
	v_xor_b32_e32 v24, v59, v24
	v_and_b32_e32 v18, 0x80000000, v18
	v_xor_b32_e32 v16, v24, v16
	v_xor_b32_e32 v16, v16, v18
	v_cndmask_b32_e64 v11, -v11, v19, vcc
	v_cndmask_b32_e64 v16, v13, v16, s[48:49]
	v_xor_b32_e32 v11, v18, v11
	v_mul_f32_e32 v7, v33, v16
	v_cndmask_b32_e64 v11, v13, v11, s[48:49]
	buffer_store_dword v7, off, s[96:99], 0 offset:68 ; 4-byte Folded Spill
	v_mul_f32_e32 v7, v33, v11
	buffer_store_dword v7, off, s[96:99], 0 offset:76 ; 4-byte Folded Spill
	buffer_load_dword v7, off, s[96:99], 0 offset:168 ; 4-byte Folded Reload
	v_mov_b32_e32 v18, 0x3c0881c4
	s_waitcnt vmcnt(3)
	v_cndmask_b32_e64 v1, v1, v21, s[58:59]
	v_mul_f32_e32 v4, v1, v1
	v_fmac_f32_e32 v6, 0xb94c1982, v4
	v_fma_f32 v6, v4, v6, v57
	v_mul_f32_e32 v6, v4, v6
	v_fmac_f32_e32 v1, v1, v6
	v_mov_b32_e32 v6, 0xbab64f3b
	v_fmac_f32_e32 v6, 0x37d75334, v4
	v_fma_f32 v6, v4, v6, v23
	v_fma_f32 v6, v4, v6, v58
	v_fma_f32 v4, v4, v6, 1.0
	v_and_b32_e32 v6, 1, v3
	v_lshlrev_b32_e32 v3, 30, v3
	v_and_b32_e32 v3, 0x80000000, v3
	s_waitcnt vmcnt(0)
	v_cndmask_b32_e64 v11, v7, v47, s[52:53]
	buffer_load_dword v7, off, s[96:99], 0 offset:172 ; 4-byte Folded Reload
	s_waitcnt vmcnt(0)
	v_cndmask_b32_e64 v16, v7, v17, s[52:53]
	v_mul_f32_e32 v17, v11, v11
	v_fmac_f32_e32 v18, 0xb94c1982, v17
	v_fma_f32 v18, v17, v18, v57
	v_mul_f32_e32 v18, v17, v18
	v_fmac_f32_e32 v11, v11, v18
	v_mov_b32_e32 v18, 0xbab64f3b
	v_fmac_f32_e32 v18, 0x37d75334, v17
	v_fma_f32 v18, v17, v18, v23
	v_fma_f32 v18, v17, v18, v58
	v_fma_f32 v17, v17, v18, 1.0
	v_and_b32_e32 v18, 1, v16
	v_cmp_eq_u32_e32 vcc, 0, v18
	v_cndmask_b32_e32 v18, v17, v11, vcc
	v_lshlrev_b32_e32 v16, 30, v16
	v_xor_b32_e32 v18, v50, v18
	v_and_b32_e32 v16, 0x80000000, v16
	v_xor_b32_e32 v18, v18, v34
	v_xor_b32_e32 v18, v18, v16
	v_cndmask_b32_e64 v11, -v11, v17, vcc
	v_cndmask_b32_e64 v18, v13, v18, s[56:57]
	v_xor_b32_e32 v11, v16, v11
	v_mul_f32_e32 v7, v36, v18
	v_cndmask_b32_e64 v11, v13, v11, s[56:57]
	buffer_store_dword v7, off, s[96:99], 0 offset:116 ; 4-byte Folded Spill
	v_mul_f32_e64 v7, v11, -v36
	buffer_store_dword v7, off, s[96:99], 0 offset:120 ; 4-byte Folded Spill
	v_cmp_eq_u32_e32 vcc, 0, v6
	v_and_b32_e32 v7, 0x7fffffff, v12
	v_cndmask_b32_e32 v6, v4, v1, vcc
	v_or_b32_e32 v7, v3, v7
	v_cndmask_b32_e64 v1, -v1, v4, vcc
	v_xor_b32_e32 v7, v7, v12
	v_xor_b32_e32 v1, v3, v1
	;; [unrolled: 1-line block ×3, first 2 shown]
	v_cndmask_b32_e64 v1, v13, v1, s[60:61]
	v_cndmask_b32_e64 v6, v13, v6, s[60:61]
	v_mul_f32_e32 v3, v54, v1
	buffer_load_dword v55, off, s[96:99], 0 offset:280 ; 4-byte Folded Reload
	buffer_load_dword v56, off, s[96:99], 0 offset:284 ; 4-byte Folded Reload
	v_fma_f32 v44, v41, v6, -v3
	buffer_load_dword v3, off, s[96:99], 0 offset:332 ; 4-byte Folded Reload
	v_mul_f32_e32 v35, v54, v6
	v_fmac_f32_e32 v35, v41, v1
	buffer_load_dword v24, off, s[96:99], 0 offset:236 ; 4-byte Folded Reload
	s_waitcnt vmcnt(2)
	v_add_f32_e32 v1, v56, v20
	v_cmp_class_f32_e64 s[4:5], v1, s93
	s_waitcnt vmcnt(1)
	v_cmp_gt_f32_e64 s[40:41], |v1|, |v3|
	v_cmp_eq_f32_e64 vcc, |v1|, |v3|
	v_bfi_b32 v3, s80, 0, v1
	v_cndmask_b32_e32 v3, v1, v3, vcc
	buffer_store_dword v3, off, s[96:99], 0 offset:124 ; 4-byte Folded Spill
	v_cvt_f64_f32_e64 v[3:4], |v1|
	s_waitcnt vmcnt(1)
	v_add_f32_e32 v37, v24, v20
	s_and_b64 s[10:11], s[0:1], s[4:5]
	v_sub_f32_e32 v62, v20, v24
	v_frexp_exp_i32_f64_e32 v3, v[3:4]
	v_frexp_mant_f32_e64 v4, |v1|
	v_ldexp_f32 v4, v4, 12
	buffer_store_dword v4, off, s[96:99], 0 offset:132 ; 4-byte Folded Spill
	buffer_load_dword v4, off, s[96:99], 0 offset:248 ; 4-byte Folded Reload
	v_and_b32_e32 v47, 0x7fffffff, v62
	v_cmp_lt_f32_e64 s[24:25], |v37|, s82
	v_cmp_lt_f32_e64 s[26:27], |v62|, s82
	s_waitcnt vmcnt(0)
	v_sub_u32_e32 v12, v3, v4
	v_and_b32_e32 v4, 0x7fffffff, v37
	v_and_b32_e32 v3, 0x80000000, v1
	v_lshrrev_b32_e32 v1, 23, v4
	v_add_u32_e32 v1, 0xffffff88, v1
	v_cmp_lt_u32_e32 vcc, 63, v1
	buffer_store_dword v3, off, s[96:99], 0 offset:136 ; 4-byte Folded Spill
	v_cndmask_b32_e32 v3, 0, v25, vcc
	v_add_u32_e32 v1, v3, v1
	v_cmp_lt_u32_e64 s[12:13], 31, v1
	v_cndmask_b32_e64 v3, 0, v39, s[12:13]
	v_add_u32_e32 v1, v3, v1
	v_cmp_lt_u32_e64 s[14:15], 31, v1
	v_cndmask_b32_e64 v3, 0, v39, s[14:15]
	v_add_u32_e32 v1, v3, v1
	v_and_b32_e32 v3, 0x7fffff, v4
	v_or_b32_e32 v21, 0x800000, v3
	v_mad_u64_u32 v[3:4], s[4:5], v21, s83, 0
	v_cmp_eq_u32_e64 s[16:17], 0, v1
	v_cmp_lt_i32_e64 s[8:9], 12, v12
	v_mad_u64_u32 v[6:7], s[4:5], v21, s84, v[4:5]
	v_mov_b32_e32 v4, v7
	v_mad_u64_u32 v[18:19], s[4:5], v21, s85, v[4:5]
	v_mov_b32_e32 v4, v19
	v_mad_u64_u32 v[9:10], s[4:5], v21, s86, v[4:5]
	v_cndmask_b32_e32 v3, v18, v3, vcc
	v_mov_b32_e32 v4, v10
	v_mad_u64_u32 v[10:11], s[4:5], v21, s87, v[4:5]
	v_cndmask_b32_e32 v6, v9, v6, vcc
	v_cndmask_b32_e64 v3, v6, v3, s[12:13]
	v_mov_b32_e32 v4, v11
	v_mad_u64_u32 v[16:17], s[4:5], v21, s88, v[4:5]
	v_mov_b32_e32 v4, v17
	v_mad_u64_u32 v[21:22], s[4:5], v21, s89, v[4:5]
	v_cndmask_b32_e32 v7, v16, v9, vcc
	v_cndmask_b32_e32 v4, v21, v10, vcc
	v_cndmask_b32_e32 v16, v22, v16, vcc
	v_cndmask_b32_e32 v10, v10, v18, vcc
	v_cndmask_b32_e64 v11, v4, v7, s[12:13]
	v_cndmask_b32_e64 v4, v16, v4, s[12:13]
	;; [unrolled: 1-line block ×5, first 2 shown]
	v_sub_u32_e32 v4, 32, v1
	v_cndmask_b32_e64 v9, v10, v6, s[12:13]
	v_alignbit_b32 v1, v16, v11, v4
	v_cndmask_b32_e64 v7, v7, v9, s[14:15]
	v_cndmask_b32_e64 v1, v1, v16, s[16:17]
	v_alignbit_b32 v10, v11, v7, v4
	v_cndmask_b32_e64 v10, v10, v11, s[16:17]
	v_bfe_u32 v17, v1, 29, 1
	v_alignbit_b32 v11, v1, v10, 30
	v_sub_u32_e32 v19, 0, v17
	v_cndmask_b32_e64 v3, v9, v3, s[14:15]
	v_xor_b32_e32 v11, v11, v19
	v_alignbit_b32 v4, v7, v3, v4
	v_cndmask_b32_e64 v4, v4, v7, s[16:17]
	v_ffbh_u32_e32 v7, v11
	v_alignbit_b32 v6, v10, v4, 30
	v_min_u32_e32 v7, 32, v7
	v_alignbit_b32 v3, v4, v3, 30
	v_xor_b32_e32 v6, v6, v19
	v_sub_u32_e32 v9, 31, v7
	v_xor_b32_e32 v3, v3, v19
	v_alignbit_b32 v10, v11, v6, v9
	v_alignbit_b32 v3, v6, v3, v9
	;; [unrolled: 1-line block ×3, first 2 shown]
	v_ffbh_u32_e32 v6, v4
	v_min_u32_e32 v6, 32, v6
	v_lshrrev_b32_e32 v16, 29, v1
	v_not_b32_e32 v9, v6
	v_alignbit_b32 v3, v4, v3, v9
	v_lshlrev_b32_e32 v4, 31, v16
	v_or_b32_e32 v9, 0x33000000, v4
	v_add_lshl_u32 v6, v6, v7, 23
	v_lshrrev_b32_e32 v3, 9, v3
	v_sub_u32_e32 v6, v9, v6
	v_or_b32_e32 v4, 0.5, v4
	v_lshlrev_b32_e32 v7, 23, v7
	v_or_b32_e32 v3, v6, v3
	v_lshrrev_b32_e32 v6, 9, v10
	v_sub_u32_e32 v4, v4, v7
	v_or_b32_e32 v4, v6, v4
	v_mul_f32_e32 v6, 0x3fc90fda, v4
	v_fma_f32 v7, v4, s90, -v6
	v_fmac_f32_e32 v7, 0x33a22168, v4
	v_fmac_f32_e32 v7, 0x3fc90fda, v3
	v_lshrrev_b32_e32 v1, 30, v1
	v_add_f32_e32 v6, v6, v7
	v_add_u32_e32 v7, v17, v1
	v_mul_f32_e64 v1, |v37|, s91
	v_rndne_f32_e32 v1, v1
	v_fma_f32 v27, v1, s92, |v37|
	v_fmac_f32_e32 v27, 0xb3a22168, v1
	v_fmac_f32_e32 v27, 0xa7c234c4, v1
	v_cvt_i32_f32_e32 v43, v1
	v_lshrrev_b32_e32 v1, 23, v47
	v_add_u32_e32 v1, 0xffffff88, v1
	v_cmp_lt_u32_e32 vcc, 63, v1
	v_cndmask_b32_e32 v3, 0, v25, vcc
	v_add_u32_e32 v1, v3, v1
	v_cmp_lt_u32_e64 s[14:15], 31, v1
	v_cndmask_b32_e64 v3, 0, v39, s[14:15]
	v_add_u32_e32 v1, v3, v1
	v_cmp_lt_u32_e64 s[16:17], 31, v1
	v_cndmask_b32_e64 v3, 0, v39, s[16:17]
	v_add_u32_e32 v1, v3, v1
	v_and_b32_e32 v3, 0x7fffff, v47
	v_or_b32_e32 v21, 0x800000, v3
	v_mad_u64_u32 v[3:4], s[4:5], v21, s83, 0
	v_cmp_eq_u32_e64 s[18:19], 0, v1
	v_cmp_class_f32_e64 s[12:13], v37, s93
	v_mad_u64_u32 v[9:10], s[4:5], v21, s84, v[4:5]
	v_mov_b32_e32 v4, v10
	v_mad_u64_u32 v[18:19], s[4:5], v21, s85, v[4:5]
	v_mov_b32_e32 v4, v19
	v_mad_u64_u32 v[10:11], s[4:5], v21, s86, v[4:5]
	v_cndmask_b32_e32 v3, v18, v3, vcc
	v_mov_b32_e32 v4, v11
	v_mad_u64_u32 v[16:17], s[4:5], v21, s87, v[4:5]
	v_cndmask_b32_e32 v9, v10, v9, vcc
	v_cndmask_b32_e64 v3, v9, v3, s[14:15]
	v_mov_b32_e32 v4, v17
	v_mad_u64_u32 v[19:20], s[4:5], v21, s88, v[4:5]
	v_mov_b32_e32 v4, v20
	v_mad_u64_u32 v[20:21], s[4:5], v21, s89, v[4:5]
	v_cndmask_b32_e32 v11, v19, v10, vcc
	v_cndmask_b32_e32 v4, v20, v16, vcc
	;; [unrolled: 1-line block ×4, first 2 shown]
	v_cndmask_b32_e64 v17, v4, v11, s[14:15]
	v_cndmask_b32_e64 v4, v19, v4, s[14:15]
	;; [unrolled: 1-line block ×5, first 2 shown]
	v_sub_u32_e32 v4, 32, v1
	v_cndmask_b32_e64 v10, v16, v9, s[14:15]
	v_alignbit_b32 v1, v19, v17, v4
	v_cndmask_b32_e64 v11, v11, v10, s[16:17]
	v_cndmask_b32_e64 v1, v1, v19, s[18:19]
	v_alignbit_b32 v16, v17, v11, v4
	v_cndmask_b32_e64 v16, v16, v17, s[18:19]
	v_bfe_u32 v20, v1, 29, 1
	v_alignbit_b32 v17, v1, v16, 30
	v_sub_u32_e32 v21, 0, v20
	v_cndmask_b32_e64 v3, v10, v3, s[16:17]
	v_xor_b32_e32 v17, v17, v21
	v_alignbit_b32 v4, v11, v3, v4
	v_cndmask_b32_e64 v4, v4, v11, s[18:19]
	v_ffbh_u32_e32 v10, v17
	v_alignbit_b32 v9, v16, v4, 30
	v_min_u32_e32 v10, 32, v10
	v_alignbit_b32 v3, v4, v3, 30
	v_xor_b32_e32 v9, v9, v21
	v_sub_u32_e32 v11, 31, v10
	v_xor_b32_e32 v3, v3, v21
	v_alignbit_b32 v16, v17, v9, v11
	v_alignbit_b32 v3, v9, v3, v11
	;; [unrolled: 1-line block ×3, first 2 shown]
	v_ffbh_u32_e32 v9, v4
	v_min_u32_e32 v9, 32, v9
	v_lshrrev_b32_e32 v19, 29, v1
	v_not_b32_e32 v11, v9
	v_alignbit_b32 v3, v4, v3, v11
	v_lshlrev_b32_e32 v4, 31, v19
	v_or_b32_e32 v11, 0x33000000, v4
	v_add_lshl_u32 v9, v9, v10, 23
	v_lshrrev_b32_e32 v3, 9, v3
	v_sub_u32_e32 v9, v11, v9
	v_or_b32_e32 v4, 0.5, v4
	v_lshlrev_b32_e32 v10, 23, v10
	v_or_b32_e32 v3, v9, v3
	v_lshrrev_b32_e32 v9, 9, v16
	v_sub_u32_e32 v4, v4, v10
	v_or_b32_e32 v4, v9, v4
	v_mul_f32_e32 v9, 0x3fc90fda, v4
	v_fma_f32 v10, v4, s90, -v9
	v_fmac_f32_e32 v10, 0x33a22168, v4
	v_fmac_f32_e32 v10, 0x3fc90fda, v3
	v_lshrrev_b32_e32 v1, 30, v1
	v_add_f32_e32 v11, v9, v10
	v_add_u32_e32 v61, v20, v1
	v_mul_f32_e64 v1, |v62|, s91
	buffer_load_dword v10, off, s[96:99], 0 offset:188 ; 4-byte Folded Reload
	v_rndne_f32_e32 v1, v1
	v_fma_f32 v60, v1, s92, |v62|
	v_fmac_f32_e32 v60, 0xb3a22168, v1
	v_fmac_f32_e32 v60, 0xa7c234c4, v1
	v_cvt_i32_f32_e32 v38, v1
	buffer_load_dword v1, off, s[96:99], 0 offset:336 ; 4-byte Folded Reload
	v_cndmask_b32_e64 v60, v11, v60, s[26:27]
	v_cmp_class_f32_e64 s[14:15], v62, s93
	s_waitcnt vmcnt(1)
	v_add_f32_e32 v9, v10, v36
	v_cvt_f64_f32_e64 v[3:4], |v9|
	v_cmp_class_f32_e64 s[4:5], v9, s93
	s_and_b64 s[18:19], s[6:7], s[4:5]
	v_frexp_exp_i32_f64_e32 v3, v[3:4]
	s_waitcnt vmcnt(0)
	v_cmp_gt_f32_e64 s[44:45], |v9|, |v1|
	v_cmp_eq_f32_e64 vcc, |v9|, |v1|
	v_bfi_b32 v1, s80, 0, v9
	v_cndmask_b32_e32 v1, v9, v1, vcc
	v_frexp_mant_f32_e64 v4, |v9|
	buffer_store_dword v1, off, s[96:99], 0 offset:100 ; 4-byte Folded Spill
	v_ldexp_f32 v1, v4, 12
	buffer_store_dword v1, off, s[96:99], 0 offset:112 ; 4-byte Folded Spill
	v_and_b32_e32 v1, 0x80000000, v9
	buffer_store_dword v1, off, s[96:99], 0 offset:128 ; 4-byte Folded Spill
	buffer_load_dword v4, off, s[96:99], 0 offset:240 ; 4-byte Folded Reload
	buffer_load_dword v16, off, s[96:99], 0 offset:264 ; 4-byte Folded Reload
	;; [unrolled: 1-line block ×5, first 2 shown]
	v_mov_b32_e32 v9, 0x3c0881c4
	s_waitcnt vmcnt(1)
	v_mov_b32_e32 v51, v18
	v_sub_u32_e32 v20, v3, v4
	v_fma_f32 v3, -v51, v51, 1.0
	v_mul_f32_e32 v1, v3, v36
	buffer_store_dword v1, off, s[96:99], 0 offset:104 ; 4-byte Folded Spill
	buffer_load_dword v1, off, s[96:99], 0 offset:72 ; 4-byte Folded Reload
	v_cndmask_b32_e64 v4, v53, v8, s[22:23]
	v_mov_b32_e32 v50, v17
	v_cmp_lt_i32_e64 s[16:17], 12, v20
	s_waitcnt vmcnt(0)
	v_cndmask_b32_e64 v3, v1, v32, s[22:23]
	v_mul_f32_e32 v8, v3, v3
	v_fmac_f32_e32 v9, 0xb94c1982, v8
	v_fma_f32 v9, v8, v9, v57
	v_mul_f32_e32 v9, v8, v9
	v_fmac_f32_e32 v3, v3, v9
	v_mov_b32_e32 v9, 0xbab64f3b
	v_fmac_f32_e32 v9, 0x37d75334, v8
	v_fma_f32 v9, v8, v9, v23
	v_fma_f32 v9, v8, v9, v58
	v_fma_f32 v8, v8, v9, 1.0
	v_and_b32_e32 v9, 1, v4
	v_lshlrev_b32_e32 v4, 30, v4
	v_cmp_eq_u32_e32 vcc, 0, v9
	v_and_b32_e32 v4, 0x80000000, v4
	v_cndmask_b32_e32 v3, v8, v3, vcc
	v_xor_b32_e32 v4, v4, v28
	v_xor_b32_e32 v3, v4, v3
	;; [unrolled: 1-line block ×3, first 2 shown]
	v_cndmask_b32_e64 v0, v13, v0, s[30:31]
	v_fma_f32 v33, v51, v0, v41
	v_cndmask_b32_e64 v0, v40, v45, s[38:39]
	v_mul_f32_e32 v4, v0, v0
	v_mov_b32_e32 v8, 0x3c0881c4
	v_fmac_f32_e32 v8, 0xb94c1982, v4
	v_fma_f32 v8, v4, v8, v57
	v_mul_f32_e32 v8, v4, v8
	v_fmac_f32_e32 v0, v0, v8
	v_mov_b32_e32 v8, 0xbab64f3b
	v_fmac_f32_e32 v8, 0x37d75334, v4
	v_fma_f32 v8, v4, v8, v23
	v_cndmask_b32_e64 v3, v42, v52, s[38:39]
	v_fma_f32 v8, v4, v8, v58
	v_fma_f32 v4, v4, v8, 1.0
	v_and_b32_e32 v8, 1, v3
	v_lshlrev_b32_e32 v3, 30, v3
	v_cmp_eq_u32_e32 vcc, 0, v8
	v_and_b32_e32 v3, 0x80000000, v3
	v_cndmask_b32_e32 v0, v4, v0, vcc
	v_xor_b32_e32 v3, v3, v29
	v_xor_b32_e32 v0, v3, v0
	v_mov_b32_e32 v58, 0x7fc00000
	v_xor_b32_e32 v0, v0, v31
	v_cndmask_b32_e64 v0, v58, v0, s[42:43]
	v_fma_f32 v17, v56, v0, v54
	v_div_scale_f32 v0, s[4:5], v10, v10, v54
	v_not_b32_e32 v13, 31
	v_mov_b32_e32 v23, 0x3d2aabf7
	v_not_b32_e32 v1, 63
	v_mov_b32_e32 v42, 0x3d2aabf7
	v_rcp_f32_e32 v3, v0
	v_fma_f32 v4, -v0, v3, 1.0
	v_fmac_f32_e32 v3, v4, v3
	v_div_scale_f32 v4, vcc, v54, v10, v54
	v_mul_f32_e32 v8, v4, v3
	v_fma_f32 v9, -v0, v8, v4
	v_fmac_f32_e32 v8, v9, v3
	v_fma_f32 v0, -v0, v8, v4
	v_div_fmas_f32 v0, v0, v3, v8
	v_div_fixup_f32 v46, v0, v10, v54
	v_and_b32_e32 v28, 0x7fffffff, v46
	v_lshrrev_b32_e32 v0, 23, v28
	v_add_u32_e32 v0, 0xffffff88, v0
	v_cmp_lt_u32_e32 vcc, 63, v0
	v_cndmask_b32_e32 v3, 0, v30, vcc
	v_add_u32_e32 v0, v3, v0
	v_cmp_lt_u32_e64 s[22:23], 31, v0
	v_cndmask_b32_e64 v3, 0, v13, s[22:23]
	v_add_u32_e32 v0, v3, v0
	v_cmp_lt_u32_e64 s[28:29], 31, v0
	v_cndmask_b32_e64 v3, 0, v13, s[28:29]
	v_add_u32_e32 v0, v3, v0
	v_and_b32_e32 v3, 0x7fffff, v28
	v_or_b32_e32 v16, 0x800000, v3
	v_mad_u64_u32 v[3:4], s[4:5], v16, s83, 0
	v_cmp_eq_u32_e64 s[30:31], 0, v0
	v_sub_u32_e32 v0, 32, v0
	v_mad_u64_u32 v[8:9], s[4:5], v16, s84, v[4:5]
	v_cmp_lt_f32_e64 s[20:21], |v46|, s82
	v_mov_b32_e32 v4, v9
	v_mad_u64_u32 v[18:19], s[4:5], v16, s85, v[4:5]
	v_mov_b32_e32 v4, v19
	v_mad_u64_u32 v[9:10], s[4:5], v16, s86, v[4:5]
	v_cndmask_b32_e32 v3, v18, v3, vcc
	v_mov_b32_e32 v4, v10
	v_mad_u64_u32 v[21:22], s[4:5], v16, s87, v[4:5]
	v_cndmask_b32_e32 v8, v9, v8, vcc
	v_cndmask_b32_e64 v3, v8, v3, s[22:23]
	v_mov_b32_e32 v4, v22
	v_mad_u64_u32 v[24:25], s[4:5], v16, s88, v[4:5]
	v_mov_b32_e32 v4, v25
	v_mad_u64_u32 v[25:26], s[4:5], v16, s89, v[4:5]
	v_cndmask_b32_e32 v10, v24, v9, vcc
	v_cndmask_b32_e32 v4, v25, v21, vcc
	v_cndmask_b32_e32 v19, v26, v24, vcc
	v_cndmask_b32_e64 v16, v4, v10, s[22:23]
	v_cndmask_b32_e64 v4, v19, v4, s[22:23]
	v_cndmask_b32_e32 v19, v21, v18, vcc
	v_cndmask_b32_e64 v10, v10, v19, s[22:23]
	v_cndmask_b32_e64 v4, v4, v16, s[28:29]
	;; [unrolled: 1-line block ×4, first 2 shown]
	v_alignbit_b32 v21, v4, v16, v0
	v_cndmask_b32_e64 v10, v10, v9, s[28:29]
	v_cndmask_b32_e64 v4, v21, v4, s[30:31]
	v_alignbit_b32 v19, v16, v10, v0
	v_cndmask_b32_e64 v16, v19, v16, s[30:31]
	v_bfe_u32 v22, v4, 29, 1
	v_alignbit_b32 v19, v4, v16, 30
	v_sub_u32_e32 v24, 0, v22
	v_cndmask_b32_e64 v3, v9, v3, s[28:29]
	v_xor_b32_e32 v19, v19, v24
	v_alignbit_b32 v0, v10, v3, v0
	v_cndmask_b32_e64 v0, v0, v10, s[30:31]
	v_ffbh_u32_e32 v9, v19
	v_alignbit_b32 v8, v16, v0, 30
	v_min_u32_e32 v9, 32, v9
	v_alignbit_b32 v0, v0, v3, 30
	v_xor_b32_e32 v8, v8, v24
	v_sub_u32_e32 v10, 31, v9
	v_xor_b32_e32 v0, v0, v24
	v_alignbit_b32 v16, v19, v8, v10
	v_alignbit_b32 v0, v8, v0, v10
	;; [unrolled: 1-line block ×3, first 2 shown]
	v_ffbh_u32_e32 v8, v3
	v_min_u32_e32 v8, 32, v8
	v_lshrrev_b32_e32 v21, 29, v4
	v_not_b32_e32 v10, v8
	v_alignbit_b32 v0, v3, v0, v10
	v_lshlrev_b32_e32 v3, 31, v21
	v_or_b32_e32 v10, 0x33000000, v3
	v_add_lshl_u32 v8, v8, v9, 23
	v_lshrrev_b32_e32 v0, 9, v0
	v_sub_u32_e32 v8, v10, v8
	v_or_b32_e32 v0, v8, v0
	v_lshrrev_b32_e32 v8, 9, v16
	buffer_load_dword v16, off, s[96:99], 0 offset:304 ; 4-byte Folded Reload
	v_or_b32_e32 v3, 0.5, v3
	v_lshlrev_b32_e32 v9, 23, v9
	v_sub_u32_e32 v3, v3, v9
	v_or_b32_e32 v3, v8, v3
	v_mul_f32_e32 v8, 0x3fc90fda, v3
	v_fma_f32 v9, v3, s90, -v8
	v_fmac_f32_e32 v9, 0x33a22168, v3
	v_lshrrev_b32_e32 v3, 30, v4
	v_add_u32_e32 v52, v22, v3
	v_mul_f32_e64 v3, |v46|, s91
	v_rndne_f32_e32 v3, v3
	v_fma_f32 v26, v3, s92, |v46|
	v_fmac_f32_e32 v26, 0xb3a22168, v3
	v_fmac_f32_e32 v26, 0xa7c234c4, v3
	v_cvt_i32_f32_e32 v32, v3
	v_fmac_f32_e32 v9, 0x3fc90fda, v0
	v_add_f32_e32 v0, v8, v9
	v_cndmask_b32_e64 v0, v0, v26, s[20:21]
	v_cmp_class_f32_e64 s[22:23], v46, s93
	v_mov_b32_e32 v26, 0
	s_waitcnt vmcnt(0)
	v_div_scale_f32 v3, s[4:5], v16, v16, v41
	v_rcp_f32_e32 v4, v3
	v_fma_f32 v8, -v3, v4, 1.0
	v_fmac_f32_e32 v4, v8, v4
	v_div_scale_f32 v8, vcc, v41, v16, v41
	v_mul_f32_e32 v9, v8, v4
	v_fma_f32 v10, -v3, v9, v8
	v_fmac_f32_e32 v9, v10, v4
	v_fma_f32 v3, -v3, v9, v8
	v_div_fmas_f32 v3, v3, v4, v9
	v_div_fixup_f32 v59, v3, v16, v41
	v_and_b32_e32 v45, 0x7fffffff, v59
	v_lshrrev_b32_e32 v3, 23, v45
	v_add_u32_e32 v3, 0xffffff88, v3
	v_cmp_lt_u32_e64 s[36:37], 63, v3
	v_cndmask_b32_e64 v4, 0, v30, s[36:37]
	v_add_u32_e32 v3, v4, v3
	v_cmp_lt_u32_e64 s[28:29], 31, v3
	v_cndmask_b32_e64 v4, 0, v13, s[28:29]
	;; [unrolled: 3-line block ×3, first 2 shown]
	v_add_u32_e32 v16, v4, v3
	v_and_b32_e32 v3, 0x7fffff, v45
	v_or_b32_e32 v29, 0x800000, v3
	v_mad_u64_u32 v[3:4], s[4:5], v29, s83, 0
	v_cmp_eq_u32_e64 s[34:35], 0, v16
	v_sub_u32_e32 v16, 32, v16
	v_mad_u64_u32 v[8:9], s[4:5], v29, s84, v[4:5]
	v_cmp_lt_f32_e64 vcc, |v59|, s82
	v_mov_b32_e32 v4, v9
	v_mad_u64_u32 v[18:19], s[4:5], v29, s85, v[4:5]
	v_mov_b32_e32 v4, v19
	v_mad_u64_u32 v[9:10], s[4:5], v29, s86, v[4:5]
	v_cndmask_b32_e64 v3, v18, v3, s[36:37]
	v_mov_b32_e32 v4, v10
	v_mad_u64_u32 v[21:22], s[4:5], v29, s87, v[4:5]
	v_cndmask_b32_e64 v31, v9, v8, s[36:37]
	v_cndmask_b32_e64 v3, v31, v3, s[28:29]
	v_mov_b32_e32 v4, v22
	v_mad_u64_u32 v[24:25], s[4:5], v29, s88, v[4:5]
	v_mov_b32_e32 v4, v25
	v_mad_u64_u32 v[29:30], s[4:5], v29, s89, v[4:5]
	v_cndmask_b32_e64 v10, v24, v9, s[36:37]
	v_cndmask_b32_e64 v4, v29, v21, s[36:37]
	v_cndmask_b32_e64 v22, v30, v24, s[36:37]
	v_cndmask_b32_e64 v21, v21, v18, s[36:37]
	v_cndmask_b32_e64 v19, v4, v10, s[28:29]
	v_cndmask_b32_e64 v4, v22, v4, s[28:29]
	v_cndmask_b32_e64 v10, v10, v21, s[28:29]
	v_cndmask_b32_e64 v4, v4, v19, s[30:31]
	v_cndmask_b32_e64 v19, v19, v10, s[30:31]
	v_cndmask_b32_e64 v34, v21, v31, s[28:29]
	v_alignbit_b32 v22, v4, v19, v16
	v_cndmask_b32_e64 v30, v10, v34, s[30:31]
	v_cndmask_b32_e64 v4, v22, v4, s[34:35]
	v_alignbit_b32 v8, v19, v30, v16
	v_cndmask_b32_e64 v39, v8, v19, s[34:35]
	v_bfe_u32 v9, v4, 29, 1
	v_alignbit_b32 v8, v4, v39, 30
	v_sub_u32_e32 v29, 0, v9
	v_cndmask_b32_e64 v3, v34, v3, s[30:31]
	v_xor_b32_e32 v40, v8, v29
	v_alignbit_b32 v8, v30, v3, v16
	v_cndmask_b32_e64 v8, v8, v30, s[34:35]
	v_ffbh_u32_e32 v16, v40
	v_alignbit_b32 v10, v39, v8, 30
	v_min_u32_e32 v16, 32, v16
	v_alignbit_b32 v3, v8, v3, 30
	v_xor_b32_e32 v10, v10, v29
	v_sub_u32_e32 v18, 31, v16
	v_xor_b32_e32 v3, v3, v29
	v_alignbit_b32 v21, v40, v10, v18
	v_alignbit_b32 v3, v10, v3, v18
	;; [unrolled: 1-line block ×3, first 2 shown]
	v_ffbh_u32_e32 v10, v8
	v_min_u32_e32 v10, 32, v10
	v_lshrrev_b32_e32 v19, 29, v4
	v_not_b32_e32 v18, v10
	v_alignbit_b32 v3, v8, v3, v18
	v_lshlrev_b32_e32 v8, 31, v19
	v_or_b32_e32 v18, 0x33000000, v8
	v_add_lshl_u32 v10, v10, v16, 23
	v_lshrrev_b32_e32 v3, 9, v3
	v_sub_u32_e32 v10, v18, v10
	v_or_b32_e32 v8, 0.5, v8
	v_lshlrev_b32_e32 v16, 23, v16
	v_or_b32_e32 v3, v10, v3
	v_lshrrev_b32_e32 v10, 9, v21
	v_sub_u32_e32 v8, v8, v16
	v_or_b32_e32 v8, v10, v8
	v_mul_f32_e32 v10, 0x3fc90fda, v8
	v_fma_f32 v16, v8, s90, -v10
	v_cndmask_b32_e64 v18, v6, v27, s[24:25]
	v_fmac_f32_e32 v16, 0x33a22168, v8
	v_cndmask_b32_e64 v6, v7, v43, s[24:25]
	v_mul_f32_e32 v7, v18, v18
	v_mov_b32_e32 v8, 0x3c0881c4
	v_fmac_f32_e32 v8, 0xb94c1982, v7
	v_fma_f32 v8, v7, v8, v57
	v_mul_f32_e32 v8, v7, v8
	v_fmac_f32_e32 v18, v18, v8
	v_mov_b32_e32 v8, 0xbab64f3b
	v_fmac_f32_e32 v8, 0x37d75334, v7
	v_mov_b32_e32 v22, 0x3d2aabf7
	v_fmac_f32_e32 v16, 0x3fc90fda, v3
	v_fma_f32 v8, v7, v8, v22
	v_mov_b32_e32 v21, 0xbf000004
	v_add_f32_e32 v10, v10, v16
	v_fma_f32 v8, v7, v8, v21
	v_and_b32_e32 v16, 1, v6
	v_fma_f32 v19, v7, v8, 1.0
	v_cmp_eq_u32_e64 s[24:25], 0, v16
	v_lshlrev_b32_e32 v6, 30, v6
	v_cndmask_b32_e64 v7, -v18, v19, s[24:25]
	v_and_b32_e32 v27, 0x80000000, v6
	v_xor_b32_e32 v6, v27, v7
	v_cndmask_b32_e64 v43, v58, v6, s[12:13]
	v_mul_f32_e32 v6, v60, v60
	v_mov_b32_e32 v8, 0x3c0881c4
	v_fmac_f32_e32 v8, 0xb94c1982, v6
	v_fma_f32 v8, v6, v8, v57
	v_mul_f32_e32 v8, v6, v8
	v_fmac_f32_e32 v60, v60, v8
	v_mov_b32_e32 v8, 0xbab64f3b
	v_fmac_f32_e32 v8, 0x37d75334, v6
	v_fma_f32 v8, v6, v8, v22
	v_fma_f32 v8, v6, v8, v21
	v_mul_f32_e32 v21, v0, v0
	v_mov_b32_e32 v22, 0x3c0881c4
	v_fmac_f32_e32 v22, 0xb94c1982, v21
	v_fma_f32 v22, v21, v22, v57
	v_cndmask_b32_e64 v7, v61, v38, s[26:27]
	v_mul_f32_e32 v22, v21, v22
	v_lshrrev_b32_e32 v3, 30, v4
	v_mul_f32_e64 v4, |v59|, s91
	v_fma_f32 v61, v6, v8, 1.0
	v_and_b32_e32 v6, 1, v7
	v_fmac_f32_e32 v0, v0, v22
	v_mov_b32_e32 v22, 0xbab64f3b
	v_rndne_f32_e32 v4, v4
	v_cmp_eq_u32_e64 s[24:25], 0, v6
	v_lshlrev_b32_e32 v7, 30, v7
	v_fmac_f32_e32 v22, 0x37d75334, v21
	v_add_u32_e32 v3, v9, v3
	v_fma_f32 v9, v4, s92, |v59|
	v_mov_b32_e32 v24, 0xbf000004
	v_cndmask_b32_e64 v8, -v60, v61, s[24:25]
	v_and_b32_e32 v11, 0x80000000, v7
	v_fma_f32 v22, v21, v22, v23
	v_fmac_f32_e32 v9, 0xb3a22168, v4
	v_xor_b32_e32 v7, v11, v8
	v_cndmask_b32_e64 v8, v52, v32, s[20:21]
	v_fma_f32 v22, v21, v22, v24
	v_fmac_f32_e32 v9, 0xa7c234c4, v4
	v_cvt_i32_f32_e32 v4, v4
	v_fma_f32 v21, v21, v22, 1.0
	v_and_b32_e32 v22, 1, v8
	v_lshlrev_b32_e32 v8, 30, v8
	v_cmp_eq_u32_e64 s[20:21], 0, v22
	v_and_b32_e32 v8, 0x80000000, v8
	v_cndmask_b32_e64 v0, v21, v0, s[20:21]
	v_xor_b32_e32 v8, v8, v46
	v_xor_b32_e32 v0, v8, v0
	v_cndmask_b32_e32 v8, v10, v9, vcc
	v_cndmask_b32_e32 v3, v3, v4, vcc
	v_mul_f32_e32 v4, v8, v8
	v_mov_b32_e32 v9, 0x3c0881c4
	v_fmac_f32_e32 v9, 0xb94c1982, v4
	v_fma_f32 v9, v4, v9, v57
	v_mul_f32_e32 v9, v4, v9
	v_fmac_f32_e32 v8, v8, v9
	v_mov_b32_e32 v9, 0xbab64f3b
	v_fmac_f32_e32 v9, 0x37d75334, v4
	v_fma_f32 v9, v4, v9, v23
	v_fma_f32 v9, v4, v9, v24
	v_fma_f32 v4, v4, v9, 1.0
	v_and_b32_e32 v9, 1, v3
	v_lshlrev_b32_e32 v3, 30, v3
	v_cmp_eq_u32_e32 vcc, 0, v9
	v_and_b32_e32 v3, 0x80000000, v3
	v_cndmask_b32_e32 v4, v4, v8, vcc
	v_xor_b32_e32 v3, v3, v59
	v_xor_b32_e32 v3, v3, v4
	v_cmp_class_f32_e64 s[28:29], v59, s93
	v_xor_b32_e32 v0, v0, v28
	v_xor_b32_e32 v3, v3, v45
	v_cndmask_b32_e64 v0, v58, v0, s[22:23]
	v_cndmask_b32_e64 v3, v58, v3, s[28:29]
	v_fma_f32 v0, v50, v0, v41
	v_fma_f32 v28, v55, v3, v54
	buffer_load_dword v55, off, s[96:99], 0 offset:180 ; 4-byte Folded Reload
	buffer_load_dword v56, off, s[96:99], 0 offset:184 ; 4-byte Folded Reload
	;; [unrolled: 1-line block ×4, first 2 shown]
	buffer_load_dword v50, off, s[96:99], 0 ; 4-byte Folded Reload
	v_cndmask_b32_e64 v7, v58, v7, s[14:15]
	v_mov_b32_e32 v23, 0xbf000004
	v_mov_b32_e32 v9, 0
                                        ; implicit-def: $vgpr21
                                        ; implicit-def: $vgpr10
	s_branch .LBB2_34
.LBB2_27:                               ;   in Loop: Header=BB2_34 Depth=2
	s_or_b64 exec, exec, s[34:35]
	s_waitcnt vmcnt(1)
	v_mov_b32_e32 v4, v21
	s_waitcnt vmcnt(0)
	v_mov_b32_e32 v22, v10
.LBB2_28:                               ;   in Loop: Header=BB2_34 Depth=2
	s_or_b64 exec, exec, s[30:31]
.LBB2_29:                               ;   in Loop: Header=BB2_34 Depth=2
	s_or_b64 exec, exec, s[24:25]
.LBB2_30:                               ;   in Loop: Header=BB2_34 Depth=2
	s_or_b64 exec, exec, s[22:23]
.LBB2_31:                               ;   in Loop: Header=BB2_34 Depth=2
	s_or_b64 exec, exec, s[20:21]
	s_waitcnt vmcnt(0)
	v_mov_b32_e32 v10, v22
	v_mov_b32_e32 v21, v4
.LBB2_32:                               ;   in Loop: Header=BB2_34 Depth=2
	s_or_b64 exec, exec, s[28:29]
	s_waitcnt vmcnt(0)
	v_fmac_f32_e32 v26, v29, v10
	v_fmac_f32_e32 v9, v29, v21
.LBB2_33:                               ;   in Loop: Header=BB2_34 Depth=2
	s_or_b64 exec, exec, s[26:27]
	s_add_i32 s76, s76, 1
	s_cmp_lg_u32 s76, 5
	s_cbranch_scc0 .LBB2_1
.LBB2_34:                               ;   Parent Loop BB2_2 Depth=1
                                        ; =>  This Loop Header: Depth=2
                                        ;       Child Loop BB2_154 Depth 3
                                        ;       Child Loop BB2_167 Depth 3
	s_lshl_b64 s[4:5], s[76:77], 3
	v_mov_b32_e32 v4, s5
	v_add_co_u32_e32 v3, vcc, s4, v14
	v_addc_co_u32_e32 v4, vcc, v15, v4, vcc
	global_load_dword v29, v[3:4], off offset:4
	s_mov_b32 s4, 0x3c23d70a
	s_waitcnt vmcnt(0)
	v_cmp_nlt_f32_e64 s[4:5], |v29|, s4
	s_and_saveexec_b64 s[26:27], s[4:5]
	s_cbranch_execz .LBB2_33
; %bb.35:                               ;   in Loop: Header=BB2_34 Depth=2
	global_load_dword v3, v[3:4], off
	s_waitcnt vmcnt(0)
	v_cmp_lt_i32_e32 vcc, 17, v3
	s_and_saveexec_b64 s[4:5], vcc
	s_xor_b64 s[28:29], exec, s[4:5]
	s_cbranch_execz .LBB2_181
; %bb.36:                               ;   in Loop: Header=BB2_34 Depth=2
	v_cmp_lt_i32_e32 vcc, 33, v3
	s_and_saveexec_b64 s[4:5], vcc
	s_xor_b64 s[30:31], exec, s[4:5]
	s_cbranch_execz .LBB2_122
; %bb.37:                               ;   in Loop: Header=BB2_34 Depth=2
	;; [unrolled: 5-line block ×6, first 2 shown]
	v_cmp_eq_u32_e32 vcc, 48, v3
	s_and_saveexec_b64 s[22:23], vcc
	s_cbranch_execz .LBB2_43
; %bb.42:                               ;   in Loop: Header=BB2_34 Depth=2
	buffer_load_dword v21, off, s[96:99], 0 offset:256 ; 4-byte Folded Reload
	buffer_load_dword v10, off, s[96:99], 0 offset:252 ; 4-byte Folded Reload
.LBB2_43:                               ;   in Loop: Header=BB2_34 Depth=2
	s_or_b64 exec, exec, s[22:23]
.LBB2_44:                               ;   in Loop: Header=BB2_34 Depth=2
	s_andn2_saveexec_b64 s[42:43], s[20:21]
	s_cbranch_execz .LBB2_54
; %bb.45:                               ;   in Loop: Header=BB2_34 Depth=2
	global_load_dword v3, v[55:56], off
                                        ; implicit-def: $vgpr10
                                        ; implicit-def: $vgpr22
	s_waitcnt vmcnt(0)
	v_mul_f32_e32 v3, v36, v3
	v_mul_f32_e32 v3, v29, v3
	v_and_b32_e32 v21, 0x7fffffff, v3
	v_lshrrev_b32_e32 v4, 23, v21
	v_and_b32_e32 v8, 0x7fffff, v21
	v_cmp_nlt_f32_e64 s[46:47], |v3|, s82
	v_add_u32_e32 v30, 0xffffff88, v4
	v_or_b32_e32 v24, 0x800000, v8
	s_and_saveexec_b64 s[4:5], s[46:47]
	s_xor_b64 s[48:49], exec, s[4:5]
	s_cbranch_execz .LBB2_47
; %bb.46:                               ;   in Loop: Header=BB2_34 Depth=2
	v_mad_u64_u32 v[31:32], s[4:5], v24, s83, 0
	v_cmp_lt_u32_e32 vcc, 63, v30
	v_mov_b32_e32 v4, v32
	v_mad_u64_u32 v[38:39], s[4:5], v24, s84, v[4:5]
	v_mov_b32_e32 v4, v39
	v_mad_u64_u32 v[39:40], s[4:5], v24, s85, v[4:5]
	;; [unrolled: 2-line block ×3, first 2 shown]
	v_cndmask_b32_e32 v4, 0, v1, vcc
	v_add_u32_e32 v8, v4, v30
	v_mov_b32_e32 v4, v46
	v_mad_u64_u32 v[50:51], s[4:5], v24, s87, v[4:5]
	v_cmp_lt_u32_e64 s[20:21], 31, v8
	v_cndmask_b32_e64 v4, 0, v13, s[20:21]
	v_add_u32_e32 v8, v4, v8
	v_mov_b32_e32 v4, v51
	v_mad_u64_u32 v[51:52], s[4:5], v24, s88, v[4:5]
	v_cmp_lt_u32_e64 s[22:23], 31, v8
	v_cndmask_b32_e64 v4, 0, v13, s[22:23]
	v_add_u32_e32 v8, v4, v8
	v_mov_b32_e32 v4, v52
	v_mad_u64_u32 v[52:53], s[4:5], v24, s89, v[4:5]
	v_cndmask_b32_e32 v4, v50, v39, vcc
	v_cndmask_b32_e32 v10, v51, v45, vcc
	;; [unrolled: 1-line block ×3, first 2 shown]
	buffer_load_dword v50, off, s[96:99], 0 ; 4-byte Folded Reload
	v_cndmask_b32_e32 v32, v53, v51, vcc
	buffer_load_dword v53, off, s[96:99], 0 offset:4 ; 4-byte Folded Reload
	v_cndmask_b32_e64 v22, v10, v4, s[20:21]
	v_cndmask_b32_e64 v10, v25, v10, s[20:21]
	;; [unrolled: 1-line block ×5, first 2 shown]
	v_sub_u32_e32 v32, 32, v8
	v_alignbit_b32 v34, v25, v10, v32
	v_cmp_eq_u32_e64 s[24:25], 0, v8
	v_cndmask_b32_e64 v8, v34, v25, s[24:25]
	v_cndmask_b32_e32 v25, v45, v38, vcc
	v_cndmask_b32_e64 v4, v4, v25, s[20:21]
	v_cndmask_b32_e64 v22, v22, v4, s[22:23]
	v_alignbit_b32 v34, v10, v22, v32
	v_cndmask_b32_e32 v31, v39, v31, vcc
	v_cndmask_b32_e64 v10, v34, v10, s[24:25]
	v_bfe_u32 v40, v8, 29, 1
	v_cndmask_b32_e64 v25, v25, v31, s[20:21]
	v_alignbit_b32 v34, v8, v10, 30
	v_sub_u32_e32 v42, 0, v40
	v_cndmask_b32_e64 v4, v4, v25, s[22:23]
	v_xor_b32_e32 v34, v34, v42
	v_alignbit_b32 v25, v22, v4, v32
	v_cndmask_b32_e64 v22, v25, v22, s[24:25]
	v_ffbh_u32_e32 v25, v34
	v_alignbit_b32 v10, v10, v22, 30
	v_min_u32_e32 v25, 32, v25
	v_alignbit_b32 v4, v22, v4, 30
	v_xor_b32_e32 v10, v10, v42
	v_sub_u32_e32 v31, 31, v25
	v_xor_b32_e32 v4, v4, v42
	v_alignbit_b32 v32, v34, v10, v31
	v_alignbit_b32 v4, v10, v4, v31
	;; [unrolled: 1-line block ×3, first 2 shown]
	v_ffbh_u32_e32 v22, v10
	v_min_u32_e32 v22, 32, v22
	v_lshrrev_b32_e32 v38, 29, v8
	v_not_b32_e32 v31, v22
	v_alignbit_b32 v4, v10, v4, v31
	v_lshlrev_b32_e32 v10, 31, v38
	v_or_b32_e32 v31, 0x33000000, v10
	v_add_lshl_u32 v22, v22, v25, 23
	v_lshrrev_b32_e32 v4, 9, v4
	v_sub_u32_e32 v22, v31, v22
	v_or_b32_e32 v10, 0.5, v10
	v_lshlrev_b32_e32 v25, 23, v25
	v_or_b32_e32 v4, v22, v4
	v_lshrrev_b32_e32 v22, 9, v32
	v_sub_u32_e32 v10, v10, v25
	v_or_b32_e32 v10, v22, v10
	v_mul_f32_e32 v22, 0x3fc90fda, v10
	v_fma_f32 v25, v10, s90, -v22
	v_fmac_f32_e32 v25, 0x33a22168, v10
	v_fmac_f32_e32 v25, 0x3fc90fda, v4
	v_lshrrev_b32_e32 v4, 30, v8
	v_add_f32_e32 v22, v22, v25
	v_add_u32_e32 v10, v40, v4
.LBB2_47:                               ;   in Loop: Header=BB2_34 Depth=2
	s_or_saveexec_b64 s[20:21], s[48:49]
	v_mul_f32_e64 v4, |v3|, s91
	v_rndne_f32_e32 v32, v4
	s_xor_b64 exec, exec, s[20:21]
; %bb.48:                               ;   in Loop: Header=BB2_34 Depth=2
	v_cvt_i32_f32_e32 v10, v32
	v_fma_f32 v22, v32, s92, |v3|
	v_fmac_f32_e32 v22, 0xb3a22168, v32
	v_fmac_f32_e32 v22, 0xa7c234c4, v32
; %bb.49:                               ;   in Loop: Header=BB2_34 Depth=2
	s_or_b64 exec, exec, s[20:21]
                                        ; implicit-def: $vgpr4
                                        ; implicit-def: $vgpr31
	s_and_saveexec_b64 s[4:5], s[46:47]
	s_xor_b64 s[46:47], exec, s[4:5]
	s_cbranch_execz .LBB2_51
; %bb.50:                               ;   in Loop: Header=BB2_34 Depth=2
	v_mad_u64_u32 v[31:32], s[4:5], v24, s83, 0
	v_cmp_lt_u32_e32 vcc, 63, v30
	v_mov_b32_e32 v4, v32
	v_mad_u64_u32 v[38:39], s[4:5], v24, s84, v[4:5]
	v_mov_b32_e32 v4, v39
	v_mad_u64_u32 v[39:40], s[4:5], v24, s85, v[4:5]
	;; [unrolled: 2-line block ×3, first 2 shown]
	v_cndmask_b32_e32 v4, 0, v1, vcc
	v_add_u32_e32 v8, v4, v30
	v_mov_b32_e32 v4, v46
	s_waitcnt vmcnt(1)
	v_mad_u64_u32 v[50:51], s[4:5], v24, s87, v[4:5]
	v_cmp_lt_u32_e64 s[20:21], 31, v8
	v_cndmask_b32_e64 v4, 0, v13, s[20:21]
	v_add_u32_e32 v8, v4, v8
	v_mov_b32_e32 v4, v51
	v_mad_u64_u32 v[51:52], s[4:5], v24, s88, v[4:5]
	v_cmp_lt_u32_e64 s[22:23], 31, v8
	v_cndmask_b32_e64 v4, 0, v13, s[22:23]
	v_add_u32_e32 v8, v4, v8
	v_mov_b32_e32 v4, v52
	v_mad_u64_u32 v[24:25], s[4:5], v24, s89, v[4:5]
	v_cndmask_b32_e32 v4, v50, v39, vcc
	v_cndmask_b32_e32 v30, v51, v45, vcc
	v_cndmask_b32_e32 v24, v24, v50, vcc
	buffer_load_dword v50, off, s[96:99], 0 ; 4-byte Folded Reload
	v_cndmask_b32_e32 v25, v25, v51, vcc
	v_cndmask_b32_e64 v32, v30, v4, s[20:21]
	v_cndmask_b32_e64 v30, v24, v30, s[20:21]
	;; [unrolled: 1-line block ×5, first 2 shown]
	v_sub_u32_e32 v30, 32, v8
	v_alignbit_b32 v34, v24, v25, v30
	v_cmp_eq_u32_e64 s[24:25], 0, v8
	v_cndmask_b32_e64 v8, v34, v24, s[24:25]
	v_cndmask_b32_e32 v24, v45, v38, vcc
	v_cndmask_b32_e64 v4, v4, v24, s[20:21]
	v_cndmask_b32_e64 v32, v32, v4, s[22:23]
	v_alignbit_b32 v34, v25, v32, v30
	v_cndmask_b32_e32 v31, v39, v31, vcc
	v_cndmask_b32_e64 v25, v34, v25, s[24:25]
	v_bfe_u32 v40, v8, 29, 1
	v_cndmask_b32_e64 v24, v24, v31, s[20:21]
	v_alignbit_b32 v34, v8, v25, 30
	v_sub_u32_e32 v42, 0, v40
	v_cndmask_b32_e64 v4, v4, v24, s[22:23]
	v_xor_b32_e32 v34, v34, v42
	v_alignbit_b32 v24, v32, v4, v30
	v_cndmask_b32_e64 v24, v24, v32, s[24:25]
	v_ffbh_u32_e32 v30, v34
	v_alignbit_b32 v25, v25, v24, 30
	v_min_u32_e32 v30, 32, v30
	v_alignbit_b32 v4, v24, v4, 30
	v_xor_b32_e32 v25, v25, v42
	v_sub_u32_e32 v31, 31, v30
	v_xor_b32_e32 v4, v4, v42
	v_alignbit_b32 v32, v34, v25, v31
	v_alignbit_b32 v4, v25, v4, v31
	;; [unrolled: 1-line block ×3, first 2 shown]
	v_ffbh_u32_e32 v25, v24
	v_min_u32_e32 v25, 32, v25
	v_lshrrev_b32_e32 v38, 29, v8
	v_not_b32_e32 v31, v25
	v_alignbit_b32 v4, v24, v4, v31
	v_lshlrev_b32_e32 v24, 31, v38
	v_or_b32_e32 v31, 0x33000000, v24
	v_add_lshl_u32 v25, v25, v30, 23
	v_lshrrev_b32_e32 v4, 9, v4
	v_sub_u32_e32 v25, v31, v25
	v_or_b32_e32 v24, 0.5, v24
	v_lshlrev_b32_e32 v30, 23, v30
	v_or_b32_e32 v4, v25, v4
	v_lshrrev_b32_e32 v25, 9, v32
	v_sub_u32_e32 v24, v24, v30
	v_or_b32_e32 v24, v25, v24
	v_mul_f32_e32 v25, 0x3fc90fda, v24
	v_fma_f32 v30, v24, s90, -v25
	v_fmac_f32_e32 v30, 0x33a22168, v24
	v_fmac_f32_e32 v30, 0x3fc90fda, v4
	v_lshrrev_b32_e32 v4, 30, v8
	v_add_f32_e32 v31, v25, v30
	v_add_u32_e32 v4, v40, v4
                                        ; implicit-def: $vgpr32
	s_andn2_saveexec_b64 s[20:21], s[46:47]
	s_cbranch_execnz .LBB2_52
	s_branch .LBB2_53
.LBB2_51:                               ;   in Loop: Header=BB2_34 Depth=2
	s_andn2_saveexec_b64 s[20:21], s[46:47]
.LBB2_52:                               ;   in Loop: Header=BB2_34 Depth=2
	v_cvt_i32_f32_e32 v4, v32
	v_fma_f32 v31, v32, s92, |v3|
	v_fmac_f32_e32 v31, 0xb3a22168, v32
	v_fmac_f32_e32 v31, 0xa7c234c4, v32
.LBB2_53:                               ;   in Loop: Header=BB2_34 Depth=2
	s_or_b64 exec, exec, s[20:21]
	v_mul_f32_e32 v8, v3, v3
	s_mov_b32 s4, 0x800000
	v_cmp_gt_f32_e32 vcc, s4, v8
	v_cndmask_b32_e64 v24, 0, 32, vcc
	v_ldexp_f32 v8, v8, v24
	v_log_f32_e32 v8, v8
	s_mov_b32 s4, 0x3e9a209a
	v_mov_b32_e32 v24, 0x411a209b
	v_cndmask_b32_e32 v24, 0, v24, vcc
	v_mul_f32_e32 v25, 0x3e9a209a, v8
	v_fma_f32 v25, v8, s4, -v25
	v_fmac_f32_e32 v25, 0x3284fbcf, v8
	v_fmac_f32_e32 v25, 0x3e9a209a, v8
	v_cmp_lt_f32_e64 vcc, |v8|, s79
	v_cndmask_b32_e32 v8, v8, v25, vcc
	v_sub_f32_e32 v8, v8, v24
	v_mul_f32_e32 v24, v22, v22
	v_mov_b32_e32 v25, 0x3c0881c4
	v_fmac_f32_e32 v25, 0xb94c1982, v24
	v_fma_f32 v25, v24, v25, v57
	v_mul_f32_e32 v25, v24, v25
	v_fmac_f32_e32 v22, v22, v25
	v_mov_b32_e32 v25, 0xbab64f3b
	v_fmac_f32_e32 v25, 0x37d75334, v24
	v_mov_b32_e32 v23, 0x3d2aabf7
	v_fma_f32 v25, v24, v25, v23
	v_mov_b32_e32 v30, 0xbf000004
	v_fma_f32 v25, v24, v25, v30
	v_fma_f32 v24, v24, v25, 1.0
	v_and_b32_e32 v25, 1, v10
	v_cmp_eq_u32_e32 vcc, 0, v25
	v_lshlrev_b32_e32 v10, 30, v10
	v_cndmask_b32_e64 v22, -v22, v24, vcc
	v_and_b32_e32 v10, 0x80000000, v10
	v_xor_b32_e32 v10, v10, v22
	v_mul_f32_e32 v22, v31, v31
	v_mov_b32_e32 v24, 0x3c0881c4
	v_fmac_f32_e32 v24, 0xb94c1982, v22
	v_fma_f32 v24, v22, v24, v57
	v_mul_f32_e32 v24, v22, v24
	v_fmac_f32_e32 v31, v31, v24
	v_mov_b32_e32 v24, 0xbab64f3b
	v_fmac_f32_e32 v24, 0x37d75334, v22
	v_fma_f32 v24, v22, v24, v23
	v_fma_f32 v24, v22, v24, v30
	v_fma_f32 v22, v22, v24, 1.0
	v_and_b32_e32 v24, 1, v4
	v_lshlrev_b32_e32 v4, 30, v4
	v_cmp_class_f32_e64 vcc, v3, s93
	v_cmp_eq_u32_e64 s[20:21], 0, v24
	v_and_b32_e32 v4, 0x80000000, v4
	v_xor_b32_e32 v3, v21, v3
	v_cndmask_b32_e64 v22, v22, v31, s[20:21]
	v_xor_b32_e32 v3, v3, v4
	v_xor_b32_e32 v3, v3, v22
	v_cndmask_b32_e32 v10, v58, v10, vcc
	v_mul_f32_e32 v3, 0x40490fdb, v3
	v_add_f32_e32 v8, v8, v10
	v_cndmask_b32_e32 v3, v58, v3, vcc
	v_mul_f32_e32 v10, v41, v8
	v_mov_b32_e32 v42, 0x3d2aabf7
	v_mov_b32_e32 v23, 0xbf000004
	v_sub_f32_e32 v21, v8, v3
.LBB2_54:                               ;   in Loop: Header=BB2_34 Depth=2
	s_or_b64 exec, exec, s[42:43]
.LBB2_55:                               ;   in Loop: Header=BB2_34 Depth=2
	s_andn2_saveexec_b64 s[38:39], s[38:39]
	s_cbranch_execz .LBB2_61
; %bb.56:                               ;   in Loop: Header=BB2_34 Depth=2
	v_mul_f32_e32 v3, v36, v29
	v_cmp_nlt_f32_e64 s[4:5], |v3|, s82
                                        ; implicit-def: $vgpr4
                                        ; implicit-def: $vgpr10
	s_and_saveexec_b64 s[20:21], s[4:5]
	s_xor_b64 s[42:43], exec, s[20:21]
	s_cbranch_execz .LBB2_58
; %bb.57:                               ;   in Loop: Header=BB2_34 Depth=2
	v_and_b32_e32 v8, 0x7fffffff, v3
	v_and_b32_e32 v4, 0x7fffff, v8
	s_waitcnt vmcnt(0)
	v_or_b32_e32 v10, 0x800000, v4
	v_mad_u64_u32 v[21:22], s[4:5], v10, s83, 0
	v_mov_b32_e32 v4, v22
	v_mad_u64_u32 v[24:25], s[4:5], v10, s84, v[4:5]
	v_mov_b32_e32 v4, v25
	;; [unrolled: 2-line block ×3, first 2 shown]
	v_mad_u64_u32 v[31:32], s[4:5], v10, s86, v[4:5]
	v_lshrrev_b32_e32 v4, 23, v8
	v_add_u32_e32 v8, 0xffffff88, v4
	v_mov_b32_e32 v4, v32
	v_mad_u64_u32 v[38:39], s[4:5], v10, s87, v[4:5]
	v_cmp_lt_u32_e32 vcc, 63, v8
	v_cndmask_b32_e32 v4, 0, v1, vcc
	v_add_u32_e32 v8, v4, v8
	v_mov_b32_e32 v4, v39
	v_mad_u64_u32 v[39:40], s[4:5], v10, s88, v[4:5]
	v_cmp_lt_u32_e64 s[20:21], 31, v8
	v_cndmask_b32_e64 v4, 0, v13, s[20:21]
	v_add_u32_e32 v8, v4, v8
	v_mov_b32_e32 v4, v40
	v_mad_u64_u32 v[45:46], s[4:5], v10, s89, v[4:5]
	v_cmp_lt_u32_e64 s[22:23], 31, v8
	v_cndmask_b32_e64 v4, 0, v13, s[22:23]
	v_add_u32_e32 v4, v4, v8
	v_cndmask_b32_e32 v8, v39, v31, vcc
	v_cndmask_b32_e32 v10, v45, v38, vcc
	;; [unrolled: 1-line block ×3, first 2 shown]
	v_cndmask_b32_e64 v25, v10, v8, s[20:21]
	v_cndmask_b32_e64 v10, v22, v10, s[20:21]
	v_cndmask_b32_e32 v22, v38, v30, vcc
	v_cndmask_b32_e64 v8, v8, v22, s[20:21]
	v_cndmask_b32_e64 v10, v10, v25, s[22:23]
	;; [unrolled: 1-line block ×3, first 2 shown]
	v_sub_u32_e32 v32, 32, v4
	v_alignbit_b32 v34, v10, v25, v32
	v_cmp_eq_u32_e64 s[24:25], 0, v4
	v_cndmask_b32_e64 v4, v34, v10, s[24:25]
	v_cndmask_b32_e32 v10, v31, v24, vcc
	v_cndmask_b32_e64 v22, v22, v10, s[20:21]
	v_cndmask_b32_e64 v8, v8, v22, s[22:23]
	v_alignbit_b32 v24, v25, v8, v32
	v_cndmask_b32_e32 v21, v30, v21, vcc
	v_cndmask_b32_e64 v24, v24, v25, s[24:25]
	v_bfe_u32 v34, v4, 29, 1
	v_cndmask_b32_e64 v10, v10, v21, s[20:21]
	v_alignbit_b32 v25, v4, v24, 30
	v_sub_u32_e32 v38, 0, v34
	v_cndmask_b32_e64 v10, v22, v10, s[22:23]
	v_xor_b32_e32 v25, v25, v38
	v_alignbit_b32 v21, v8, v10, v32
	v_cndmask_b32_e64 v8, v21, v8, s[24:25]
	v_ffbh_u32_e32 v22, v25
	v_alignbit_b32 v21, v24, v8, 30
	v_min_u32_e32 v22, 32, v22
	v_alignbit_b32 v8, v8, v10, 30
	v_xor_b32_e32 v21, v21, v38
	v_sub_u32_e32 v24, 31, v22
	v_xor_b32_e32 v8, v8, v38
	v_alignbit_b32 v25, v25, v21, v24
	v_alignbit_b32 v8, v21, v8, v24
	;; [unrolled: 1-line block ×3, first 2 shown]
	v_ffbh_u32_e32 v21, v10
	v_min_u32_e32 v21, 32, v21
	v_lshrrev_b32_e32 v31, 29, v4
	v_not_b32_e32 v24, v21
	v_alignbit_b32 v8, v10, v8, v24
	v_lshlrev_b32_e32 v10, 31, v31
	v_or_b32_e32 v24, 0x33000000, v10
	v_add_lshl_u32 v21, v21, v22, 23
	v_lshrrev_b32_e32 v8, 9, v8
	v_sub_u32_e32 v21, v24, v21
	v_or_b32_e32 v10, 0.5, v10
	v_lshlrev_b32_e32 v22, 23, v22
	v_or_b32_e32 v8, v21, v8
	v_lshrrev_b32_e32 v21, 9, v25
	v_sub_u32_e32 v10, v10, v22
	v_or_b32_e32 v10, v21, v10
	v_mul_f32_e32 v21, 0x3fc90fda, v10
	v_fma_f32 v22, v10, s90, -v21
	v_fmac_f32_e32 v22, 0x33a22168, v10
	v_fmac_f32_e32 v22, 0x3fc90fda, v8
	v_lshrrev_b32_e32 v4, 30, v4
	v_add_f32_e32 v10, v21, v22
	v_add_u32_e32 v4, v34, v4
.LBB2_58:                               ;   in Loop: Header=BB2_34 Depth=2
	s_andn2_saveexec_b64 s[20:21], s[42:43]
	s_cbranch_execz .LBB2_60
; %bb.59:                               ;   in Loop: Header=BB2_34 Depth=2
	v_mul_f32_e64 v4, |v3|, s91
	v_rndne_f32_e32 v8, v4
	v_cvt_i32_f32_e32 v4, v8
	s_waitcnt vmcnt(0)
	v_fma_f32 v10, v8, s92, |v3|
	v_fmac_f32_e32 v10, 0xb3a22168, v8
	v_fmac_f32_e32 v10, 0xa7c234c4, v8
.LBB2_60:                               ;   in Loop: Header=BB2_34 Depth=2
	s_or_b64 exec, exec, s[20:21]
	s_waitcnt vmcnt(0)
	v_mul_f32_e32 v8, v10, v10
	v_mov_b32_e32 v21, 0x3c0881c4
	v_fmac_f32_e32 v21, 0xb94c1982, v8
	v_fma_f32 v21, v8, v21, v57
	v_mul_f32_e32 v21, v8, v21
	v_fmac_f32_e32 v10, v10, v21
	v_mov_b32_e32 v21, 0xbab64f3b
	v_fmac_f32_e32 v21, 0x37d75334, v8
	v_fma_f32 v21, v8, v21, v42
	v_fma_f32 v21, v8, v21, v23
	v_fma_f32 v8, v8, v21, 1.0
	v_and_b32_e32 v21, 1, v4
	v_cmp_eq_u32_e32 vcc, 0, v21
	v_lshlrev_b32_e32 v4, 30, v4
	v_cndmask_b32_e64 v8, -v10, v8, vcc
	v_and_b32_e32 v4, 0x80000000, v4
	v_xor_b32_e32 v4, v4, v8
	v_cmp_class_f32_e64 vcc, v3, s93
	v_cndmask_b32_e32 v3, v58, v4, vcc
	v_mul_f32_e32 v3, v29, v3
	v_div_scale_f32 v4, s[4:5], v3, v3, 1.0
	v_div_scale_f32 v8, vcc, 1.0, v3, 1.0
	v_rcp_f32_e32 v10, v4
	v_fma_f32 v21, -v4, v10, 1.0
	v_fmac_f32_e32 v10, v21, v10
	v_mul_f32_e32 v21, v8, v10
	v_fma_f32 v22, -v4, v21, v8
	v_fmac_f32_e32 v21, v22, v10
	v_fma_f32 v4, -v4, v21, v8
	v_div_fmas_f32 v4, v4, v10, v21
	v_mov_b32_e32 v10, v41
	v_div_fixup_f32 v21, v4, v3, 1.0
.LBB2_61:                               ;   in Loop: Header=BB2_34 Depth=2
	s_or_b64 exec, exec, s[38:39]
                                        ; implicit-def: $vgpr3
.LBB2_62:                               ;   in Loop: Header=BB2_34 Depth=2
	s_andn2_saveexec_b64 s[36:37], s[36:37]
	s_cbranch_execz .LBB2_88
; %bb.63:                               ;   in Loop: Header=BB2_34 Depth=2
	v_cmp_lt_i32_e32 vcc, 44, v3
                                        ; implicit-def: $vgpr21
                                        ; implicit-def: $vgpr10
	s_and_saveexec_b64 s[4:5], vcc
	s_xor_b64 s[38:39], exec, s[4:5]
	s_cbranch_execz .LBB2_81
; %bb.64:                               ;   in Loop: Header=BB2_34 Depth=2
	global_load_dword v3, v[55:56], off
                                        ; implicit-def: $vgpr10
                                        ; implicit-def: $vgpr22
	s_waitcnt vmcnt(0)
	v_mul_f32_e32 v3, v36, v3
	v_mul_f32_e32 v3, v29, v3
	v_and_b32_e32 v21, 0x7fffffff, v3
	v_lshrrev_b32_e32 v4, 23, v21
	v_and_b32_e32 v8, 0x7fffff, v21
	v_cmp_nlt_f32_e64 s[42:43], |v3|, s82
	v_add_u32_e32 v30, 0xffffff88, v4
	v_or_b32_e32 v24, 0x800000, v8
	s_and_saveexec_b64 s[4:5], s[42:43]
	s_xor_b64 s[46:47], exec, s[4:5]
	s_cbranch_execz .LBB2_66
; %bb.65:                               ;   in Loop: Header=BB2_34 Depth=2
	v_mad_u64_u32 v[31:32], s[4:5], v24, s83, 0
	v_cmp_lt_u32_e32 vcc, 63, v30
	v_mov_b32_e32 v4, v32
	v_mad_u64_u32 v[38:39], s[4:5], v24, s84, v[4:5]
	v_mov_b32_e32 v4, v39
	v_mad_u64_u32 v[39:40], s[4:5], v24, s85, v[4:5]
	;; [unrolled: 2-line block ×3, first 2 shown]
	v_cndmask_b32_e32 v4, 0, v1, vcc
	v_add_u32_e32 v8, v4, v30
	v_mov_b32_e32 v4, v46
	v_mad_u64_u32 v[50:51], s[4:5], v24, s87, v[4:5]
	v_cmp_lt_u32_e64 s[20:21], 31, v8
	v_cndmask_b32_e64 v4, 0, v13, s[20:21]
	v_add_u32_e32 v8, v4, v8
	v_mov_b32_e32 v4, v51
	v_mad_u64_u32 v[51:52], s[4:5], v24, s88, v[4:5]
	v_cmp_lt_u32_e64 s[22:23], 31, v8
	v_cndmask_b32_e64 v4, 0, v13, s[22:23]
	v_add_u32_e32 v8, v4, v8
	v_mov_b32_e32 v4, v52
	v_mad_u64_u32 v[52:53], s[4:5], v24, s89, v[4:5]
	v_cndmask_b32_e32 v4, v50, v39, vcc
	v_cndmask_b32_e32 v10, v51, v45, vcc
	v_cndmask_b32_e32 v25, v52, v50, vcc
	buffer_load_dword v50, off, s[96:99], 0 ; 4-byte Folded Reload
	v_cndmask_b32_e32 v32, v53, v51, vcc
	buffer_load_dword v53, off, s[96:99], 0 offset:4 ; 4-byte Folded Reload
	v_cndmask_b32_e64 v22, v10, v4, s[20:21]
	v_cndmask_b32_e64 v10, v25, v10, s[20:21]
	;; [unrolled: 1-line block ×5, first 2 shown]
	v_sub_u32_e32 v32, 32, v8
	v_alignbit_b32 v34, v25, v10, v32
	v_cmp_eq_u32_e64 s[24:25], 0, v8
	v_cndmask_b32_e64 v8, v34, v25, s[24:25]
	v_cndmask_b32_e32 v25, v45, v38, vcc
	v_cndmask_b32_e64 v4, v4, v25, s[20:21]
	v_cndmask_b32_e64 v22, v22, v4, s[22:23]
	v_alignbit_b32 v34, v10, v22, v32
	v_cndmask_b32_e32 v31, v39, v31, vcc
	v_cndmask_b32_e64 v10, v34, v10, s[24:25]
	v_bfe_u32 v40, v8, 29, 1
	v_cndmask_b32_e64 v25, v25, v31, s[20:21]
	v_alignbit_b32 v34, v8, v10, 30
	v_sub_u32_e32 v42, 0, v40
	v_cndmask_b32_e64 v4, v4, v25, s[22:23]
	v_xor_b32_e32 v34, v34, v42
	v_alignbit_b32 v25, v22, v4, v32
	v_cndmask_b32_e64 v22, v25, v22, s[24:25]
	v_ffbh_u32_e32 v25, v34
	v_alignbit_b32 v10, v10, v22, 30
	v_min_u32_e32 v25, 32, v25
	v_alignbit_b32 v4, v22, v4, 30
	v_xor_b32_e32 v10, v10, v42
	v_sub_u32_e32 v31, 31, v25
	v_xor_b32_e32 v4, v4, v42
	v_alignbit_b32 v32, v34, v10, v31
	v_alignbit_b32 v4, v10, v4, v31
	;; [unrolled: 1-line block ×3, first 2 shown]
	v_ffbh_u32_e32 v22, v10
	v_min_u32_e32 v22, 32, v22
	v_lshrrev_b32_e32 v38, 29, v8
	v_not_b32_e32 v31, v22
	v_alignbit_b32 v4, v10, v4, v31
	v_lshlrev_b32_e32 v10, 31, v38
	v_or_b32_e32 v31, 0x33000000, v10
	v_add_lshl_u32 v22, v22, v25, 23
	v_lshrrev_b32_e32 v4, 9, v4
	v_sub_u32_e32 v22, v31, v22
	v_or_b32_e32 v10, 0.5, v10
	v_lshlrev_b32_e32 v25, 23, v25
	v_or_b32_e32 v4, v22, v4
	v_lshrrev_b32_e32 v22, 9, v32
	v_sub_u32_e32 v10, v10, v25
	v_or_b32_e32 v10, v22, v10
	v_mul_f32_e32 v22, 0x3fc90fda, v10
	v_fma_f32 v25, v10, s90, -v22
	v_fmac_f32_e32 v25, 0x33a22168, v10
	v_fmac_f32_e32 v25, 0x3fc90fda, v4
	v_lshrrev_b32_e32 v4, 30, v8
	v_add_f32_e32 v22, v22, v25
	v_add_u32_e32 v10, v40, v4
.LBB2_66:                               ;   in Loop: Header=BB2_34 Depth=2
	s_or_saveexec_b64 s[20:21], s[46:47]
	v_mul_f32_e64 v4, |v3|, s91
	v_rndne_f32_e32 v34, v4
	s_xor_b64 exec, exec, s[20:21]
; %bb.67:                               ;   in Loop: Header=BB2_34 Depth=2
	v_cvt_i32_f32_e32 v10, v34
	v_fma_f32 v22, v34, s92, |v3|
	v_fmac_f32_e32 v22, 0xb3a22168, v34
	v_fmac_f32_e32 v22, 0xa7c234c4, v34
; %bb.68:                               ;   in Loop: Header=BB2_34 Depth=2
	s_or_b64 exec, exec, s[20:21]
                                        ; implicit-def: $vgpr31
                                        ; implicit-def: $vgpr32
	s_and_saveexec_b64 s[4:5], s[42:43]
	s_xor_b64 s[46:47], exec, s[4:5]
	s_cbranch_execz .LBB2_70
; %bb.69:                               ;   in Loop: Header=BB2_34 Depth=2
	v_mad_u64_u32 v[31:32], s[4:5], v24, s83, 0
	v_cmp_lt_u32_e32 vcc, 63, v30
	v_mov_b32_e32 v4, v32
	v_mad_u64_u32 v[38:39], s[4:5], v24, s84, v[4:5]
	v_mov_b32_e32 v4, v39
	v_mad_u64_u32 v[39:40], s[4:5], v24, s85, v[4:5]
	;; [unrolled: 2-line block ×3, first 2 shown]
	v_cndmask_b32_e32 v4, 0, v1, vcc
	v_add_u32_e32 v8, v4, v30
	v_mov_b32_e32 v4, v46
	s_waitcnt vmcnt(1)
	v_mad_u64_u32 v[50:51], s[4:5], v24, s87, v[4:5]
	v_cmp_lt_u32_e64 s[20:21], 31, v8
	v_cndmask_b32_e64 v4, 0, v13, s[20:21]
	v_add_u32_e32 v8, v4, v8
	v_mov_b32_e32 v4, v51
	v_mad_u64_u32 v[51:52], s[4:5], v24, s88, v[4:5]
	v_cmp_lt_u32_e64 s[22:23], 31, v8
	v_cndmask_b32_e64 v4, 0, v13, s[22:23]
	v_add_u32_e32 v8, v4, v8
	v_mov_b32_e32 v4, v52
	s_waitcnt vmcnt(0)
	v_mad_u64_u32 v[52:53], s[4:5], v24, s89, v[4:5]
	v_cndmask_b32_e32 v4, v50, v39, vcc
	v_cndmask_b32_e32 v25, v51, v45, vcc
	;; [unrolled: 1-line block ×4, first 2 shown]
	v_cndmask_b32_e64 v32, v25, v4, s[20:21]
	v_cndmask_b32_e64 v25, v40, v25, s[20:21]
	;; [unrolled: 1-line block ×3, first 2 shown]
	v_cndmask_b32_e32 v38, v45, v38, vcc
	v_cndmask_b32_e32 v31, v39, v31, vcc
	v_cndmask_b32_e64 v40, v40, v25, s[22:23]
	v_cndmask_b32_e64 v25, v25, v32, s[22:23]
	v_sub_u32_e32 v42, 32, v8
	v_cndmask_b32_e64 v4, v4, v38, s[20:21]
	v_cndmask_b32_e64 v31, v38, v31, s[20:21]
	v_alignbit_b32 v46, v40, v25, v42
	v_cmp_eq_u32_e64 s[24:25], 0, v8
	v_cndmask_b32_e64 v32, v32, v4, s[22:23]
	v_cndmask_b32_e64 v4, v4, v31, s[22:23]
	;; [unrolled: 1-line block ×3, first 2 shown]
	v_alignbit_b32 v40, v25, v32, v42
	v_alignbit_b32 v31, v32, v4, v42
	v_cndmask_b32_e64 v25, v40, v25, s[24:25]
	v_bfe_u32 v46, v8, 29, 1
	v_cndmask_b32_e64 v31, v31, v32, s[24:25]
	v_alignbit_b32 v40, v8, v25, 30
	v_sub_u32_e32 v50, 0, v46
	v_alignbit_b32 v25, v25, v31, 30
	v_alignbit_b32 v4, v31, v4, 30
	buffer_load_dword v53, off, s[96:99], 0 offset:4 ; 4-byte Folded Reload
	v_xor_b32_e32 v40, v40, v50
	v_xor_b32_e32 v25, v25, v50
	;; [unrolled: 1-line block ×3, first 2 shown]
	buffer_load_dword v50, off, s[96:99], 0 ; 4-byte Folded Reload
	v_ffbh_u32_e32 v32, v40
	v_min_u32_e32 v32, 32, v32
	v_sub_u32_e32 v38, 31, v32
	v_alignbit_b32 v39, v40, v25, v38
	v_alignbit_b32 v4, v25, v4, v38
	;; [unrolled: 1-line block ×3, first 2 shown]
	v_ffbh_u32_e32 v31, v25
	v_min_u32_e32 v31, 32, v31
	v_lshrrev_b32_e32 v45, 29, v8
	v_not_b32_e32 v38, v31
	v_alignbit_b32 v4, v25, v4, v38
	v_lshlrev_b32_e32 v25, 31, v45
	v_or_b32_e32 v38, 0x33000000, v25
	v_add_lshl_u32 v31, v31, v32, 23
	v_lshrrev_b32_e32 v4, 9, v4
	v_sub_u32_e32 v31, v38, v31
	v_or_b32_e32 v25, 0.5, v25
	v_lshlrev_b32_e32 v32, 23, v32
	v_or_b32_e32 v4, v31, v4
	v_lshrrev_b32_e32 v31, 9, v39
	v_sub_u32_e32 v25, v25, v32
	v_or_b32_e32 v25, v31, v25
	v_mul_f32_e32 v31, 0x3fc90fda, v25
	v_fma_f32 v32, v25, s90, -v31
	v_fmac_f32_e32 v32, 0x33a22168, v25
	v_fmac_f32_e32 v32, 0x3fc90fda, v4
	v_lshrrev_b32_e32 v4, 30, v8
	v_add_f32_e32 v32, v31, v32
	v_add_u32_e32 v31, v46, v4
	s_andn2_saveexec_b64 s[20:21], s[46:47]
	s_branch .LBB2_71
.LBB2_70:                               ;   in Loop: Header=BB2_34 Depth=2
	s_andn2_saveexec_b64 s[20:21], s[46:47]
.LBB2_71:                               ;   in Loop: Header=BB2_34 Depth=2
	v_cvt_i32_f32_e32 v31, v34
	v_fma_f32 v32, v34, s92, |v3|
	v_fmac_f32_e32 v32, 0xb3a22168, v34
	v_fmac_f32_e32 v32, 0xa7c234c4, v34
; %bb.72:                               ;   in Loop: Header=BB2_34 Depth=2
	s_or_b64 exec, exec, s[20:21]
                                        ; implicit-def: $vgpr38
                                        ; implicit-def: $vgpr39
	s_and_saveexec_b64 s[4:5], s[42:43]
	s_xor_b64 s[46:47], exec, s[4:5]
	s_cbranch_execz .LBB2_74
; %bb.73:                               ;   in Loop: Header=BB2_34 Depth=2
	v_mad_u64_u32 v[38:39], s[4:5], v24, s83, 0
	v_cmp_lt_u32_e32 vcc, 63, v30
	v_mov_b32_e32 v4, v39
	v_mad_u64_u32 v[39:40], s[4:5], v24, s84, v[4:5]
	v_mov_b32_e32 v4, v40
	v_mad_u64_u32 v[45:46], s[4:5], v24, s85, v[4:5]
	v_mov_b32_e32 v4, v46
	s_waitcnt vmcnt(0)
	v_mad_u64_u32 v[50:51], s[4:5], v24, s86, v[4:5]
	v_cndmask_b32_e32 v4, 0, v1, vcc
	v_add_u32_e32 v8, v4, v30
	v_mov_b32_e32 v4, v51
	v_mad_u64_u32 v[51:52], s[4:5], v24, s87, v[4:5]
	v_cmp_lt_u32_e64 s[20:21], 31, v8
	v_cndmask_b32_e64 v4, 0, v13, s[20:21]
	v_add_u32_e32 v8, v4, v8
	v_mov_b32_e32 v4, v52
	v_mad_u64_u32 v[52:53], s[4:5], v24, s88, v[4:5]
	v_cmp_lt_u32_e64 s[22:23], 31, v8
	v_cndmask_b32_e64 v4, 0, v13, s[22:23]
	v_add_u32_e32 v8, v4, v8
	v_mov_b32_e32 v4, v53
	v_mad_u64_u32 v[55:56], s[4:5], v24, s89, v[4:5]
	v_cndmask_b32_e32 v4, v51, v45, vcc
	v_cndmask_b32_e32 v25, v52, v50, vcc
	;; [unrolled: 1-line block ×4, first 2 shown]
	v_cndmask_b32_e64 v40, v25, v4, s[20:21]
	v_cndmask_b32_e64 v25, v42, v25, s[20:21]
	;; [unrolled: 1-line block ×3, first 2 shown]
	v_cndmask_b32_e32 v39, v50, v39, vcc
	v_cndmask_b32_e64 v42, v42, v25, s[22:23]
	v_cndmask_b32_e64 v25, v25, v40, s[22:23]
	v_sub_u32_e32 v46, 32, v8
	v_cndmask_b32_e64 v4, v4, v39, s[20:21]
	v_alignbit_b32 v51, v42, v25, v46
	v_cmp_eq_u32_e64 s[24:25], 0, v8
	v_cndmask_b32_e64 v40, v40, v4, s[22:23]
	v_cndmask_b32_e64 v8, v51, v42, s[24:25]
	v_alignbit_b32 v42, v25, v40, v46
	v_cndmask_b32_e32 v38, v45, v38, vcc
	v_cndmask_b32_e64 v25, v42, v25, s[24:25]
	v_bfe_u32 v51, v8, 29, 1
	v_cndmask_b32_e64 v38, v39, v38, s[20:21]
	v_alignbit_b32 v42, v8, v25, 30
	v_sub_u32_e32 v52, 0, v51
	v_cndmask_b32_e64 v4, v4, v38, s[22:23]
	v_xor_b32_e32 v42, v42, v52
	v_alignbit_b32 v38, v40, v4, v46
	v_cndmask_b32_e64 v38, v38, v40, s[24:25]
	v_ffbh_u32_e32 v39, v42
	v_alignbit_b32 v25, v25, v38, 30
	v_min_u32_e32 v39, 32, v39
	v_alignbit_b32 v4, v38, v4, 30
	v_xor_b32_e32 v25, v25, v52
	v_sub_u32_e32 v40, 31, v39
	v_xor_b32_e32 v4, v4, v52
	v_alignbit_b32 v42, v42, v25, v40
	v_alignbit_b32 v4, v25, v4, v40
	;; [unrolled: 1-line block ×3, first 2 shown]
	v_ffbh_u32_e32 v38, v25
	v_min_u32_e32 v38, 32, v38
	buffer_load_dword v53, off, s[96:99], 0 offset:4 ; 4-byte Folded Reload
	buffer_load_dword v55, off, s[96:99], 0 offset:180 ; 4-byte Folded Reload
	;; [unrolled: 1-line block ×3, first 2 shown]
	v_lshrrev_b32_e32 v50, 29, v8
	v_not_b32_e32 v40, v38
	v_alignbit_b32 v4, v25, v4, v40
	v_lshlrev_b32_e32 v25, 31, v50
	buffer_load_dword v50, off, s[96:99], 0 ; 4-byte Folded Reload
	v_or_b32_e32 v40, 0x33000000, v25
	v_add_lshl_u32 v38, v38, v39, 23
	v_lshrrev_b32_e32 v4, 9, v4
	v_sub_u32_e32 v38, v40, v38
	v_or_b32_e32 v25, 0.5, v25
	v_lshlrev_b32_e32 v39, 23, v39
	v_or_b32_e32 v4, v38, v4
	v_lshrrev_b32_e32 v38, 9, v42
	v_sub_u32_e32 v25, v25, v39
	v_or_b32_e32 v25, v38, v25
	v_mul_f32_e32 v38, 0x3fc90fda, v25
	v_fma_f32 v39, v25, s90, -v38
	v_fmac_f32_e32 v39, 0x33a22168, v25
	v_fmac_f32_e32 v39, 0x3fc90fda, v4
	v_lshrrev_b32_e32 v4, 30, v8
	v_add_f32_e32 v39, v38, v39
	v_add_u32_e32 v38, v51, v4
	s_andn2_saveexec_b64 s[20:21], s[46:47]
	s_branch .LBB2_75
.LBB2_74:                               ;   in Loop: Header=BB2_34 Depth=2
	s_andn2_saveexec_b64 s[20:21], s[46:47]
.LBB2_75:                               ;   in Loop: Header=BB2_34 Depth=2
	v_cvt_i32_f32_e32 v38, v34
	v_fma_f32 v39, v34, s92, |v3|
	v_fmac_f32_e32 v39, 0xb3a22168, v34
	v_fmac_f32_e32 v39, 0xa7c234c4, v34
; %bb.76:                               ;   in Loop: Header=BB2_34 Depth=2
	s_or_b64 exec, exec, s[20:21]
                                        ; implicit-def: $vgpr4
                                        ; implicit-def: $vgpr40
	s_and_saveexec_b64 s[4:5], s[42:43]
	s_xor_b64 s[42:43], exec, s[4:5]
	s_cbranch_execz .LBB2_78
; %bb.77:                               ;   in Loop: Header=BB2_34 Depth=2
	v_mad_u64_u32 v[45:46], s[4:5], v24, s83, 0
	v_cmp_lt_u32_e32 vcc, 63, v30
	v_mov_b32_e32 v4, v46
	s_waitcnt vmcnt(0)
	v_mad_u64_u32 v[50:51], s[4:5], v24, s84, v[4:5]
	v_mov_b32_e32 v4, v51
	v_mad_u64_u32 v[51:52], s[4:5], v24, s85, v[4:5]
	v_mov_b32_e32 v4, v52
	v_mad_u64_u32 v[52:53], s[4:5], v24, s86, v[4:5]
	v_cndmask_b32_e32 v4, 0, v1, vcc
	v_add_u32_e32 v8, v4, v30
	v_mov_b32_e32 v4, v53
	v_mad_u64_u32 v[55:56], s[4:5], v24, s87, v[4:5]
	v_cmp_lt_u32_e64 s[20:21], 31, v8
	v_cndmask_b32_e64 v4, 0, v13, s[20:21]
	v_add_u32_e32 v8, v4, v8
	v_mov_b32_e32 v4, v56
	v_mad_u64_u32 v[56:57], s[4:5], v24, s88, v[4:5]
	v_cmp_lt_u32_e64 s[22:23], 31, v8
	v_cndmask_b32_e64 v4, 0, v13, s[22:23]
	v_add_u32_e32 v8, v4, v8
	v_mov_b32_e32 v4, v57
	v_mad_u64_u32 v[24:25], s[4:5], v24, s89, v[4:5]
	v_cndmask_b32_e32 v4, v55, v51, vcc
	v_cndmask_b32_e32 v30, v56, v52, vcc
	;; [unrolled: 1-line block ×4, first 2 shown]
	v_cndmask_b32_e64 v34, v30, v4, s[20:21]
	v_cndmask_b32_e64 v30, v24, v30, s[20:21]
	;; [unrolled: 1-line block ×5, first 2 shown]
	v_sub_u32_e32 v30, 32, v8
	v_alignbit_b32 v40, v24, v25, v30
	v_cmp_eq_u32_e64 s[24:25], 0, v8
	v_cndmask_b32_e64 v8, v40, v24, s[24:25]
	v_cndmask_b32_e32 v24, v52, v50, vcc
	v_cndmask_b32_e32 v45, v51, v45, vcc
	v_cndmask_b32_e64 v4, v4, v24, s[20:21]
	v_cndmask_b32_e64 v24, v24, v45, s[20:21]
	;; [unrolled: 1-line block ×4, first 2 shown]
	v_alignbit_b32 v40, v25, v34, v30
	v_alignbit_b32 v24, v34, v4, v30
	v_cndmask_b32_e64 v25, v40, v25, s[24:25]
	v_bfe_u32 v46, v8, 29, 1
	v_cndmask_b32_e64 v24, v24, v34, s[24:25]
	buffer_load_dword v53, off, s[96:99], 0 offset:4 ; 4-byte Folded Reload
	buffer_load_dword v55, off, s[96:99], 0 offset:180 ; 4-byte Folded Reload
	;; [unrolled: 1-line block ×3, first 2 shown]
	v_alignbit_b32 v40, v8, v25, 30
	v_sub_u32_e32 v50, 0, v46
	v_alignbit_b32 v25, v25, v24, 30
	v_alignbit_b32 v4, v24, v4, 30
	v_xor_b32_e32 v40, v40, v50
	v_xor_b32_e32 v25, v25, v50
	;; [unrolled: 1-line block ×3, first 2 shown]
	buffer_load_dword v50, off, s[96:99], 0 ; 4-byte Folded Reload
	v_ffbh_u32_e32 v30, v40
	v_min_u32_e32 v30, 32, v30
	v_sub_u32_e32 v34, 31, v30
	v_alignbit_b32 v40, v40, v25, v34
	v_alignbit_b32 v4, v25, v4, v34
	;; [unrolled: 1-line block ×3, first 2 shown]
	v_ffbh_u32_e32 v25, v24
	v_min_u32_e32 v25, 32, v25
	v_lshrrev_b32_e32 v42, 29, v8
	v_not_b32_e32 v34, v25
	v_alignbit_b32 v4, v24, v4, v34
	v_lshlrev_b32_e32 v24, 31, v42
	v_or_b32_e32 v34, 0x33000000, v24
	v_add_lshl_u32 v25, v25, v30, 23
	v_lshrrev_b32_e32 v4, 9, v4
	v_sub_u32_e32 v25, v34, v25
	v_or_b32_e32 v24, 0.5, v24
	v_lshlrev_b32_e32 v30, 23, v30
	v_or_b32_e32 v4, v25, v4
	v_lshrrev_b32_e32 v25, 9, v40
	v_sub_u32_e32 v24, v24, v30
	v_or_b32_e32 v24, v25, v24
	v_mul_f32_e32 v25, 0x3fc90fda, v24
	v_fma_f32 v30, v24, s90, -v25
	v_fmac_f32_e32 v30, 0x33a22168, v24
	v_fmac_f32_e32 v30, 0x3fc90fda, v4
	v_lshrrev_b32_e32 v4, 30, v8
	v_mov_b32_e32 v57, 0xbe2aaa9d
	v_add_f32_e32 v40, v25, v30
	v_add_u32_e32 v4, v46, v4
                                        ; implicit-def: $vgpr34
	s_andn2_saveexec_b64 s[20:21], s[42:43]
	s_cbranch_execnz .LBB2_79
	s_branch .LBB2_80
.LBB2_78:                               ;   in Loop: Header=BB2_34 Depth=2
	s_andn2_saveexec_b64 s[20:21], s[42:43]
.LBB2_79:                               ;   in Loop: Header=BB2_34 Depth=2
	v_cvt_i32_f32_e32 v4, v34
	v_fma_f32 v40, v34, s92, |v3|
	v_fmac_f32_e32 v40, 0xb3a22168, v34
	v_fmac_f32_e32 v40, 0xa7c234c4, v34
.LBB2_80:                               ;   in Loop: Header=BB2_34 Depth=2
	s_or_b64 exec, exec, s[20:21]
	v_mul_f32_e32 v8, v39, v39
	v_mov_b32_e32 v24, 0x3c0881c4
	v_fmac_f32_e32 v24, 0xb94c1982, v8
	v_fma_f32 v24, v8, v24, v57
	v_mul_f32_e32 v24, v8, v24
	v_fmac_f32_e32 v39, v39, v24
	v_mov_b32_e32 v24, 0xbab64f3b
	v_fmac_f32_e32 v24, 0x37d75334, v8
	v_mov_b32_e32 v23, 0x3d2aabf7
	v_fma_f32 v24, v8, v24, v23
	v_mov_b32_e32 v30, 0xbf000004
	v_fma_f32 v24, v8, v24, v30
	v_fma_f32 v8, v8, v24, 1.0
	v_and_b32_e32 v24, 1, v38
	v_cmp_eq_u32_e32 vcc, 0, v24
	v_lshlrev_b32_e32 v24, 30, v38
	v_cndmask_b32_e64 v8, -v39, v8, vcc
	v_and_b32_e32 v24, 0x80000000, v24
	v_xor_b32_e32 v8, v24, v8
	v_mul_f32_e32 v24, v22, v22
	v_mov_b32_e32 v25, 0x3c0881c4
	v_fmac_f32_e32 v25, 0xb94c1982, v24
	v_fma_f32 v25, v24, v25, v57
	v_mul_f32_e32 v25, v24, v25
	v_fmac_f32_e32 v22, v22, v25
	v_mov_b32_e32 v25, 0xbab64f3b
	v_fmac_f32_e32 v25, 0x37d75334, v24
	v_fma_f32 v25, v24, v25, v23
	v_fma_f32 v25, v24, v25, v30
	v_fma_f32 v24, v24, v25, 1.0
	v_and_b32_e32 v25, 1, v10
	v_cmp_eq_u32_e32 vcc, 0, v25
	v_lshlrev_b32_e32 v10, 30, v10
	v_cndmask_b32_e64 v22, -v22, v24, vcc
	v_and_b32_e32 v10, 0x80000000, v10
	v_xor_b32_e32 v10, v10, v22
	v_mul_f32_e32 v22, v32, v32
	v_mov_b32_e32 v24, 0x3c0881c4
	v_fmac_f32_e32 v24, 0xb94c1982, v22
	v_fma_f32 v24, v22, v24, v57
	v_mul_f32_e32 v24, v22, v24
	v_fmac_f32_e32 v32, v32, v24
	v_mov_b32_e32 v24, 0xbab64f3b
	v_fmac_f32_e32 v24, 0x37d75334, v22
	v_fma_f32 v24, v22, v24, v23
	v_fma_f32 v24, v22, v24, v30
	v_fma_f32 v22, v22, v24, 1.0
	v_and_b32_e32 v24, 1, v31
	v_cmp_eq_u32_e32 vcc, 0, v24
	v_lshlrev_b32_e32 v24, 30, v31
	v_and_b32_e32 v24, 0x80000000, v24
	v_cndmask_b32_e32 v22, v22, v32, vcc
	v_xor_b32_e32 v24, v21, v24
	v_xor_b32_e32 v22, v24, v22
	;; [unrolled: 1-line block ×3, first 2 shown]
	v_add_f32_e32 v10, v10, v22
	v_mul_f32_e32 v22, v40, v40
	v_mov_b32_e32 v24, 0x3c0881c4
	v_fmac_f32_e32 v24, 0xb94c1982, v22
	v_fma_f32 v24, v22, v24, v57
	v_mul_f32_e32 v24, v22, v24
	v_fmac_f32_e32 v40, v40, v24
	v_mov_b32_e32 v24, 0xbab64f3b
	v_fmac_f32_e32 v24, 0x37d75334, v22
	v_fma_f32 v24, v22, v24, v23
	v_fma_f32 v24, v22, v24, v30
	v_fma_f32 v22, v22, v24, 1.0
	v_and_b32_e32 v24, 1, v4
	v_lshlrev_b32_e32 v4, 30, v4
	v_cmp_eq_u32_e64 s[20:21], 0, v24
	v_and_b32_e32 v4, 0x80000000, v4
	v_cndmask_b32_e64 v22, v22, v40, s[20:21]
	v_xor_b32_e32 v4, v21, v4
	v_xor_b32_e32 v4, v4, v22
	v_cmp_class_f32_e64 vcc, v3, s93
	v_xor_b32_e32 v3, v4, v3
	v_sub_f32_e32 v3, v8, v3
	v_cndmask_b32_e32 v10, v58, v10, vcc
	v_cndmask_b32_e32 v3, v58, v3, vcc
	v_mul_f32_e32 v10, v41, v10
	v_mov_b32_e32 v42, 0x3d2aabf7
	v_mov_b32_e32 v23, 0xbf000004
	v_mul_f32_e32 v21, v41, v3
.LBB2_81:                               ;   in Loop: Header=BB2_34 Depth=2
	s_andn2_saveexec_b64 s[38:39], s[38:39]
	s_cbranch_execz .LBB2_87
; %bb.82:                               ;   in Loop: Header=BB2_34 Depth=2
	s_waitcnt vmcnt(1)
	global_load_dword v3, v[55:56], off
                                        ; implicit-def: $vgpr21
                                        ; implicit-def: $vgpr4
	s_waitcnt vmcnt(0)
	v_mul_f32_e32 v3, 0x40490fdb, v3
	v_mul_f32_e32 v3, v29, v3
	v_and_b32_e32 v10, 0x7fffffff, v3
	v_cmp_nlt_f32_e64 s[4:5], |v3|, s82
	s_and_saveexec_b64 s[20:21], s[4:5]
	s_xor_b64 s[42:43], exec, s[20:21]
	s_cbranch_execz .LBB2_84
; %bb.83:                               ;   in Loop: Header=BB2_34 Depth=2
	v_and_b32_e32 v4, 0x7fffff, v10
	v_or_b32_e32 v8, 0x800000, v4
	v_mad_u64_u32 v[21:22], s[4:5], v8, s83, 0
	v_mov_b32_e32 v4, v22
	v_mad_u64_u32 v[24:25], s[4:5], v8, s84, v[4:5]
	v_mov_b32_e32 v4, v25
	v_mad_u64_u32 v[30:31], s[4:5], v8, s85, v[4:5]
	v_mov_b32_e32 v4, v31
	v_mad_u64_u32 v[31:32], s[4:5], v8, s86, v[4:5]
	v_lshrrev_b32_e32 v4, 23, v10
	v_add_u32_e32 v22, 0xffffff88, v4
	v_mov_b32_e32 v4, v32
	v_mad_u64_u32 v[38:39], s[4:5], v8, s87, v[4:5]
	v_cmp_lt_u32_e32 vcc, 63, v22
	v_cndmask_b32_e32 v4, 0, v1, vcc
	v_add_u32_e32 v22, v4, v22
	v_mov_b32_e32 v4, v39
	v_mad_u64_u32 v[39:40], s[4:5], v8, s88, v[4:5]
	v_cmp_lt_u32_e64 s[20:21], 31, v22
	v_cndmask_b32_e64 v4, 0, v13, s[20:21]
	v_add_u32_e32 v22, v4, v22
	v_mov_b32_e32 v4, v40
	v_mad_u64_u32 v[45:46], s[4:5], v8, s89, v[4:5]
	v_cmp_lt_u32_e64 s[22:23], 31, v22
	v_cndmask_b32_e64 v4, 0, v13, s[22:23]
	v_add_u32_e32 v4, v4, v22
	v_cndmask_b32_e32 v8, v39, v31, vcc
	v_cndmask_b32_e32 v22, v45, v38, vcc
	;; [unrolled: 1-line block ×3, first 2 shown]
	v_cndmask_b32_e64 v32, v22, v8, s[20:21]
	v_cndmask_b32_e64 v22, v25, v22, s[20:21]
	v_cndmask_b32_e32 v25, v38, v30, vcc
	v_cndmask_b32_e64 v8, v8, v25, s[20:21]
	v_sub_u32_e32 v34, 32, v4
	v_cmp_eq_u32_e64 s[24:25], 0, v4
	v_cndmask_b32_e32 v4, v31, v24, vcc
	v_cndmask_b32_e64 v22, v22, v32, s[22:23]
	v_cndmask_b32_e64 v32, v32, v8, s[22:23]
	;; [unrolled: 1-line block ×3, first 2 shown]
	v_alignbit_b32 v38, v22, v32, v34
	v_cndmask_b32_e64 v8, v8, v24, s[22:23]
	v_cndmask_b32_e64 v22, v38, v22, s[24:25]
	v_alignbit_b32 v25, v32, v8, v34
	v_cndmask_b32_e32 v21, v30, v21, vcc
	v_cndmask_b32_e64 v25, v25, v32, s[24:25]
	v_bfe_u32 v38, v22, 29, 1
	v_cndmask_b32_e64 v4, v4, v21, s[20:21]
	v_alignbit_b32 v31, v22, v25, 30
	v_sub_u32_e32 v39, 0, v38
	v_cndmask_b32_e64 v4, v24, v4, s[22:23]
	v_xor_b32_e32 v31, v31, v39
	v_alignbit_b32 v21, v8, v4, v34
	v_cndmask_b32_e64 v8, v21, v8, s[24:25]
	v_ffbh_u32_e32 v24, v31
	v_alignbit_b32 v21, v25, v8, 30
	v_min_u32_e32 v24, 32, v24
	v_alignbit_b32 v4, v8, v4, 30
	v_xor_b32_e32 v21, v21, v39
	v_sub_u32_e32 v25, 31, v24
	v_xor_b32_e32 v4, v4, v39
	v_alignbit_b32 v30, v31, v21, v25
	v_alignbit_b32 v4, v21, v4, v25
	;; [unrolled: 1-line block ×3, first 2 shown]
	v_ffbh_u32_e32 v21, v8
	v_min_u32_e32 v21, 32, v21
	v_lshrrev_b32_e32 v32, 29, v22
	v_not_b32_e32 v25, v21
	v_alignbit_b32 v4, v8, v4, v25
	v_lshlrev_b32_e32 v8, 31, v32
	v_or_b32_e32 v25, 0x33000000, v8
	v_add_lshl_u32 v21, v21, v24, 23
	v_lshrrev_b32_e32 v4, 9, v4
	v_sub_u32_e32 v21, v25, v21
	v_or_b32_e32 v8, 0.5, v8
	v_lshlrev_b32_e32 v24, 23, v24
	v_or_b32_e32 v4, v21, v4
	v_lshrrev_b32_e32 v21, 9, v30
	v_sub_u32_e32 v8, v8, v24
	v_or_b32_e32 v8, v21, v8
	v_mul_f32_e32 v21, 0x3fc90fda, v8
	v_fma_f32 v24, v8, s90, -v21
	v_fmac_f32_e32 v24, 0x33a22168, v8
	v_fmac_f32_e32 v24, 0x3fc90fda, v4
	v_lshrrev_b32_e32 v8, 30, v22
	v_add_f32_e32 v4, v21, v24
	v_add_u32_e32 v21, v38, v8
.LBB2_84:                               ;   in Loop: Header=BB2_34 Depth=2
	s_andn2_saveexec_b64 s[20:21], s[42:43]
; %bb.85:                               ;   in Loop: Header=BB2_34 Depth=2
	v_mul_f32_e64 v4, |v3|, s91
	v_rndne_f32_e32 v8, v4
	v_cvt_i32_f32_e32 v21, v8
	v_fma_f32 v4, v8, s92, |v3|
	v_fmac_f32_e32 v4, 0xb3a22168, v8
	v_fmac_f32_e32 v4, 0xa7c234c4, v8
; %bb.86:                               ;   in Loop: Header=BB2_34 Depth=2
	s_or_b64 exec, exec, s[20:21]
	v_and_b32_e32 v8, 1, v21
	v_mul_f32_e32 v21, v4, v4
	v_mov_b32_e32 v24, 0xbf039337
	v_fmac_f32_e32 v24, 0x3c971480, v21
	v_mov_b32_e32 v25, 0x3f93f425
	v_fma_f32 v24, v21, v24, v25
	v_rcp_f32_e32 v24, v24
	v_mov_b32_e32 v22, 0x3ec54587
	v_fmac_f32_e32 v22, 0xbc8cedd3, v21
	v_cmp_eq_u32_e32 vcc, 0, v8
	v_mul_f32_e32 v22, v22, v24
	v_mul_f32_e32 v21, v21, v22
	v_fma_f32 v22, v21, v4, v4
	v_sub_f32_e32 v24, v22, v4
	v_fma_f32 v4, v21, v4, -v24
	v_rcp_f32_e32 v21, v22
	v_xor_b32_e32 v8, v10, v3
	v_fma_f32 v24, v22, -v21, 1.0
	v_fma_f32 v4, v4, -v21, v24
	v_fma_f32 v4, v4, -v21, -v21
	v_cndmask_b32_e32 v4, v4, v22, vcc
	v_xor_b32_e32 v4, v8, v4
	v_cmp_class_f32_e64 vcc, v3, s93
	v_cndmask_b32_e32 v3, v58, v4, vcc
	v_mul_f32_e32 v3, v29, v3
	v_mul_f32_e32 v24, v36, v36
	v_div_scale_f32 v4, s[4:5], v24, v24, v3
	v_rcp_f32_e32 v8, v4
	v_fma_f32 v10, -v4, v8, 1.0
	v_fmac_f32_e32 v8, v10, v8
	v_div_scale_f32 v10, vcc, v3, v24, v3
	v_mul_f32_e32 v21, v10, v8
	v_fma_f32 v22, -v4, v21, v10
	v_fmac_f32_e32 v21, v22, v8
	v_fma_f32 v4, -v4, v21, v10
	v_div_fmas_f32 v4, v4, v8, v21
	v_div_fixup_f32 v3, v4, v24, v3
	buffer_load_dword v4, off, s[96:99], 0 offset:232 ; 4-byte Folded Reload
	s_waitcnt vmcnt(0)
	v_mul_f32_e32 v10, v4, v3
	buffer_load_dword v4, off, s[96:99], 0 offset:8 ; 4-byte Folded Reload
	s_waitcnt vmcnt(0)
	v_mul_f32_e32 v21, v4, v3
.LBB2_87:                               ;   in Loop: Header=BB2_34 Depth=2
	s_or_b64 exec, exec, s[38:39]
.LBB2_88:                               ;   in Loop: Header=BB2_34 Depth=2
	s_or_b64 exec, exec, s[36:37]
                                        ; implicit-def: $vgpr3
.LBB2_89:                               ;   in Loop: Header=BB2_34 Depth=2
	s_andn2_saveexec_b64 s[34:35], s[34:35]
	s_cbranch_execz .LBB2_121
; %bb.90:                               ;   in Loop: Header=BB2_34 Depth=2
	v_cmp_lt_i32_e32 vcc, 41, v3
	s_and_saveexec_b64 s[4:5], vcc
	s_xor_b64 s[20:21], exec, s[4:5]
	s_cbranch_execz .LBB2_96
; %bb.91:                               ;   in Loop: Header=BB2_34 Depth=2
	v_cmp_lt_i32_e32 vcc, 42, v3
                                        ; implicit-def: $vgpr21
                                        ; implicit-def: $vgpr10
	s_and_saveexec_b64 s[4:5], vcc
	s_xor_b64 s[22:23], exec, s[4:5]
	s_cbranch_execz .LBB2_93
; %bb.92:                               ;   in Loop: Header=BB2_34 Depth=2
	s_waitcnt vmcnt(1)
	global_load_dword v3, v[55:56], off
	buffer_load_dword v21, off, s[96:99], 0 offset:344 ; 4-byte Folded Reload
	buffer_load_dword v22, off, s[96:99], 0 offset:348 ; 4-byte Folded Reload
	s_waitcnt vmcnt(2)
	v_add_f32_e32 v10, -0.5, v3
	s_waitcnt vmcnt(0)
	global_load_dword v4, v[21:22], off
	s_waitcnt vmcnt(0)
	v_add_f32_e32 v21, -0.5, v4
.LBB2_93:                               ;   in Loop: Header=BB2_34 Depth=2
	s_andn2_saveexec_b64 s[22:23], s[22:23]
	s_cbranch_execz .LBB2_95
; %bb.94:                               ;   in Loop: Header=BB2_34 Depth=2
	buffer_load_dword v21, off, s[96:99], 0 offset:228 ; 4-byte Folded Reload
	buffer_load_dword v10, off, s[96:99], 0 offset:224 ; 4-byte Folded Reload
.LBB2_95:                               ;   in Loop: Header=BB2_34 Depth=2
	s_or_b64 exec, exec, s[22:23]
                                        ; implicit-def: $vgpr3
.LBB2_96:                               ;   in Loop: Header=BB2_34 Depth=2
	s_andn2_saveexec_b64 s[36:37], s[20:21]
	s_cbranch_execz .LBB2_120
; %bb.97:                               ;   in Loop: Header=BB2_34 Depth=2
	v_cmp_lt_i32_e32 vcc, 40, v3
	s_and_saveexec_b64 s[4:5], vcc
	s_xor_b64 s[38:39], exec, s[4:5]
	s_cbranch_execz .LBB2_107
; %bb.98:                               ;   in Loop: Header=BB2_34 Depth=2
	s_waitcnt vmcnt(1)
	global_load_dword v3, v[55:56], off
                                        ; implicit-def: $vgpr21
                                        ; implicit-def: $vgpr24
	s_waitcnt vmcnt(0)
	v_mul_f32_e32 v3, 0x40490fdb, v3
	v_mul_f32_e32 v3, v29, v3
	v_and_b32_e32 v10, 0x7fffffff, v3
	v_lshrrev_b32_e32 v4, 23, v10
	v_and_b32_e32 v8, 0x7fffff, v10
	v_cmp_nlt_f32_e64 s[42:43], |v3|, s82
	v_add_u32_e32 v30, 0xffffff88, v4
	v_or_b32_e32 v22, 0x800000, v8
	s_and_saveexec_b64 s[4:5], s[42:43]
	s_xor_b64 s[46:47], exec, s[4:5]
	s_cbranch_execz .LBB2_100
; %bb.99:                               ;   in Loop: Header=BB2_34 Depth=2
	v_mad_u64_u32 v[24:25], s[4:5], v22, s83, 0
	v_cmp_lt_u32_e32 vcc, 63, v30
	v_mov_b32_e32 v4, v25
	v_mad_u64_u32 v[31:32], s[4:5], v22, s84, v[4:5]
	v_mov_b32_e32 v4, v32
	v_mad_u64_u32 v[38:39], s[4:5], v22, s85, v[4:5]
	;; [unrolled: 2-line block ×3, first 2 shown]
	v_cndmask_b32_e32 v4, 0, v1, vcc
	v_add_u32_e32 v8, v4, v30
	v_mov_b32_e32 v4, v40
	v_mad_u64_u32 v[45:46], s[4:5], v22, s87, v[4:5]
	v_cmp_lt_u32_e64 s[20:21], 31, v8
	v_cndmask_b32_e64 v4, 0, v13, s[20:21]
	v_add_u32_e32 v8, v4, v8
	v_mov_b32_e32 v4, v46
	v_mad_u64_u32 v[50:51], s[4:5], v22, s88, v[4:5]
	v_cmp_lt_u32_e64 s[22:23], 31, v8
	v_cndmask_b32_e64 v4, 0, v13, s[22:23]
	v_add_u32_e32 v8, v4, v8
	v_mov_b32_e32 v4, v51
	v_mad_u64_u32 v[51:52], s[4:5], v22, s89, v[4:5]
	v_cndmask_b32_e32 v21, v50, v39, vcc
	v_cndmask_b32_e32 v4, v45, v38, vcc
	;; [unrolled: 1-line block ×3, first 2 shown]
	buffer_load_dword v50, off, s[96:99], 0 ; 4-byte Folded Reload
	v_cndmask_b32_e32 v32, v51, v45, vcc
	v_cndmask_b32_e64 v25, v21, v4, s[20:21]
	v_cndmask_b32_e64 v21, v32, v21, s[20:21]
	;; [unrolled: 1-line block ×3, first 2 shown]
	v_cndmask_b32_e32 v31, v39, v31, vcc
	v_cndmask_b32_e64 v32, v32, v21, s[22:23]
	v_cndmask_b32_e64 v21, v21, v25, s[22:23]
	v_sub_u32_e32 v34, 32, v8
	v_cndmask_b32_e64 v4, v4, v31, s[20:21]
	v_alignbit_b32 v40, v32, v21, v34
	v_cmp_eq_u32_e64 s[24:25], 0, v8
	v_cndmask_b32_e64 v25, v25, v4, s[22:23]
	v_cndmask_b32_e64 v8, v40, v32, s[24:25]
	v_alignbit_b32 v32, v21, v25, v34
	v_cndmask_b32_e32 v24, v38, v24, vcc
	v_cndmask_b32_e64 v21, v32, v21, s[24:25]
	v_bfe_u32 v40, v8, 29, 1
	v_cndmask_b32_e64 v24, v31, v24, s[20:21]
	v_alignbit_b32 v32, v8, v21, 30
	v_sub_u32_e32 v42, 0, v40
	v_cndmask_b32_e64 v4, v4, v24, s[22:23]
	v_xor_b32_e32 v32, v32, v42
	v_alignbit_b32 v24, v25, v4, v34
	v_cndmask_b32_e64 v24, v24, v25, s[24:25]
	v_ffbh_u32_e32 v25, v32
	v_alignbit_b32 v21, v21, v24, 30
	v_min_u32_e32 v25, 32, v25
	v_alignbit_b32 v4, v24, v4, 30
	v_xor_b32_e32 v21, v21, v42
	v_sub_u32_e32 v31, 31, v25
	v_xor_b32_e32 v4, v4, v42
	v_alignbit_b32 v32, v32, v21, v31
	v_alignbit_b32 v4, v21, v4, v31
	;; [unrolled: 1-line block ×3, first 2 shown]
	v_ffbh_u32_e32 v24, v21
	v_min_u32_e32 v24, 32, v24
	v_lshrrev_b32_e32 v39, 29, v8
	v_not_b32_e32 v31, v24
	v_alignbit_b32 v4, v21, v4, v31
	v_lshlrev_b32_e32 v21, 31, v39
	v_or_b32_e32 v31, 0x33000000, v21
	v_add_lshl_u32 v24, v24, v25, 23
	v_lshrrev_b32_e32 v4, 9, v4
	v_sub_u32_e32 v24, v31, v24
	v_or_b32_e32 v21, 0.5, v21
	v_lshlrev_b32_e32 v25, 23, v25
	v_or_b32_e32 v4, v24, v4
	v_lshrrev_b32_e32 v24, 9, v32
	v_sub_u32_e32 v21, v21, v25
	v_or_b32_e32 v21, v24, v21
	v_mul_f32_e32 v24, 0x3fc90fda, v21
	v_fma_f32 v25, v21, s90, -v24
	v_fmac_f32_e32 v25, 0x33a22168, v21
	v_fmac_f32_e32 v25, 0x3fc90fda, v4
	v_lshrrev_b32_e32 v4, 30, v8
	v_add_f32_e32 v24, v24, v25
	v_add_u32_e32 v21, v40, v4
.LBB2_100:                              ;   in Loop: Header=BB2_34 Depth=2
	s_or_saveexec_b64 s[20:21], s[46:47]
	v_mul_f32_e64 v4, |v3|, s91
	v_rndne_f32_e32 v32, v4
	s_xor_b64 exec, exec, s[20:21]
; %bb.101:                              ;   in Loop: Header=BB2_34 Depth=2
	v_cvt_i32_f32_e32 v21, v32
	v_fma_f32 v24, v32, s92, |v3|
	v_fmac_f32_e32 v24, 0xb3a22168, v32
	v_fmac_f32_e32 v24, 0xa7c234c4, v32
; %bb.102:                              ;   in Loop: Header=BB2_34 Depth=2
	s_or_b64 exec, exec, s[20:21]
                                        ; implicit-def: $vgpr4
                                        ; implicit-def: $vgpr31
	s_and_saveexec_b64 s[4:5], s[42:43]
	s_xor_b64 s[42:43], exec, s[4:5]
	s_cbranch_execz .LBB2_104
; %bb.103:                              ;   in Loop: Header=BB2_34 Depth=2
	v_mad_u64_u32 v[31:32], s[4:5], v22, s83, 0
	v_cmp_lt_u32_e32 vcc, 63, v30
	v_mov_b32_e32 v4, v32
	v_mad_u64_u32 v[38:39], s[4:5], v22, s84, v[4:5]
	v_mov_b32_e32 v4, v39
	v_mad_u64_u32 v[39:40], s[4:5], v22, s85, v[4:5]
	;; [unrolled: 2-line block ×3, first 2 shown]
	v_cndmask_b32_e32 v4, 0, v1, vcc
	v_add_u32_e32 v8, v4, v30
	v_mov_b32_e32 v4, v46
	s_waitcnt vmcnt(0)
	v_mad_u64_u32 v[50:51], s[4:5], v22, s87, v[4:5]
	v_cmp_lt_u32_e64 s[20:21], 31, v8
	v_cndmask_b32_e64 v4, 0, v13, s[20:21]
	v_add_u32_e32 v8, v4, v8
	v_mov_b32_e32 v4, v51
	v_mad_u64_u32 v[51:52], s[4:5], v22, s88, v[4:5]
	v_cmp_lt_u32_e64 s[22:23], 31, v8
	v_cndmask_b32_e64 v4, 0, v13, s[22:23]
	v_add_u32_e32 v8, v4, v8
	v_mov_b32_e32 v4, v52
	v_mad_u64_u32 v[52:53], s[4:5], v22, s89, v[4:5]
	v_cndmask_b32_e32 v4, v50, v39, vcc
	v_cndmask_b32_e32 v22, v51, v45, vcc
	;; [unrolled: 1-line block ×3, first 2 shown]
	buffer_load_dword v50, off, s[96:99], 0 ; 4-byte Folded Reload
	v_cndmask_b32_e32 v32, v53, v51, vcc
	buffer_load_dword v53, off, s[96:99], 0 offset:4 ; 4-byte Folded Reload
	v_cndmask_b32_e64 v25, v22, v4, s[20:21]
	v_cndmask_b32_e64 v22, v30, v22, s[20:21]
	;; [unrolled: 1-line block ×5, first 2 shown]
	v_sub_u32_e32 v32, 32, v8
	v_alignbit_b32 v34, v30, v22, v32
	v_cmp_eq_u32_e64 s[24:25], 0, v8
	v_cndmask_b32_e64 v8, v34, v30, s[24:25]
	v_cndmask_b32_e32 v30, v45, v38, vcc
	v_cndmask_b32_e64 v4, v4, v30, s[20:21]
	v_cndmask_b32_e64 v25, v25, v4, s[22:23]
	v_alignbit_b32 v34, v22, v25, v32
	v_cndmask_b32_e32 v31, v39, v31, vcc
	v_cndmask_b32_e64 v22, v34, v22, s[24:25]
	v_bfe_u32 v40, v8, 29, 1
	v_cndmask_b32_e64 v30, v30, v31, s[20:21]
	v_alignbit_b32 v34, v8, v22, 30
	v_sub_u32_e32 v42, 0, v40
	v_cndmask_b32_e64 v4, v4, v30, s[22:23]
	v_xor_b32_e32 v34, v34, v42
	v_alignbit_b32 v30, v25, v4, v32
	v_cndmask_b32_e64 v25, v30, v25, s[24:25]
	v_ffbh_u32_e32 v30, v34
	v_alignbit_b32 v22, v22, v25, 30
	v_min_u32_e32 v30, 32, v30
	v_alignbit_b32 v4, v25, v4, 30
	v_xor_b32_e32 v22, v22, v42
	v_sub_u32_e32 v31, 31, v30
	v_xor_b32_e32 v4, v4, v42
	v_alignbit_b32 v32, v34, v22, v31
	v_alignbit_b32 v4, v22, v4, v31
	;; [unrolled: 1-line block ×3, first 2 shown]
	v_ffbh_u32_e32 v25, v22
	v_min_u32_e32 v25, 32, v25
	v_lshrrev_b32_e32 v38, 29, v8
	v_not_b32_e32 v31, v25
	v_alignbit_b32 v4, v22, v4, v31
	v_lshlrev_b32_e32 v22, 31, v38
	v_or_b32_e32 v31, 0x33000000, v22
	v_add_lshl_u32 v25, v25, v30, 23
	v_lshrrev_b32_e32 v4, 9, v4
	v_sub_u32_e32 v25, v31, v25
	v_or_b32_e32 v22, 0.5, v22
	v_lshlrev_b32_e32 v30, 23, v30
	v_or_b32_e32 v4, v25, v4
	v_lshrrev_b32_e32 v25, 9, v32
	v_sub_u32_e32 v22, v22, v30
	v_or_b32_e32 v22, v25, v22
	v_mul_f32_e32 v25, 0x3fc90fda, v22
	v_fma_f32 v30, v22, s90, -v25
	v_fmac_f32_e32 v30, 0x33a22168, v22
	v_fmac_f32_e32 v30, 0x3fc90fda, v4
	v_lshrrev_b32_e32 v4, 30, v8
	v_add_f32_e32 v31, v25, v30
	v_add_u32_e32 v4, v40, v4
                                        ; implicit-def: $vgpr32
	s_andn2_saveexec_b64 s[20:21], s[42:43]
	s_cbranch_execnz .LBB2_105
	s_branch .LBB2_106
.LBB2_104:                              ;   in Loop: Header=BB2_34 Depth=2
	s_andn2_saveexec_b64 s[20:21], s[42:43]
.LBB2_105:                              ;   in Loop: Header=BB2_34 Depth=2
	v_cvt_i32_f32_e32 v4, v32
	v_fma_f32 v31, v32, s92, |v3|
	v_fmac_f32_e32 v31, 0xb3a22168, v32
	v_fmac_f32_e32 v31, 0xa7c234c4, v32
.LBB2_106:                              ;   in Loop: Header=BB2_34 Depth=2
	s_or_b64 exec, exec, s[20:21]
	v_mul_f32_e32 v8, v24, v24
	v_mov_b32_e32 v22, 0x3c0881c4
	v_fmac_f32_e32 v22, 0xb94c1982, v8
	v_fma_f32 v22, v8, v22, v57
	v_mul_f32_e32 v22, v8, v22
	v_fmac_f32_e32 v24, v24, v22
	v_mov_b32_e32 v22, 0xbab64f3b
	v_fmac_f32_e32 v22, 0x37d75334, v8
	v_mov_b32_e32 v23, 0x3d2aabf7
	v_fma_f32 v22, v8, v22, v23
	v_mov_b32_e32 v25, 0xbf000004
	v_fma_f32 v22, v8, v22, v25
	v_fma_f32 v8, v8, v22, 1.0
	v_and_b32_e32 v22, 1, v21
	v_lshlrev_b32_e32 v21, 30, v21
	v_cmp_eq_u32_e32 vcc, 0, v22
	v_and_b32_e32 v21, 0x80000000, v21
	v_xor_b32_e32 v10, v10, v3
	v_cndmask_b32_e32 v8, v8, v24, vcc
	v_xor_b32_e32 v10, v10, v21
	v_xor_b32_e32 v8, v10, v8
	v_cmp_class_f32_e64 vcc, v3, s93
	v_cndmask_b32_e32 v10, v58, v8, vcc
	v_mul_f32_e32 v8, v31, v31
	v_mov_b32_e32 v21, 0x3c0881c4
	v_fmac_f32_e32 v21, 0xb94c1982, v8
	v_fma_f32 v21, v8, v21, v57
	v_mul_f32_e32 v21, v8, v21
	v_fmac_f32_e32 v31, v31, v21
	v_mov_b32_e32 v21, 0xbab64f3b
	v_fmac_f32_e32 v21, 0x37d75334, v8
	v_fma_f32 v21, v8, v21, v23
	v_fma_f32 v21, v8, v21, v25
	v_fma_f32 v8, v8, v21, 1.0
	v_and_b32_e32 v21, 1, v4
	v_cmp_eq_u32_e64 s[20:21], 0, v21
	v_lshlrev_b32_e32 v4, 30, v4
	v_cndmask_b32_e64 v8, -v31, v8, s[20:21]
	v_and_b32_e32 v4, 0x80000000, v4
	v_xor_b32_e32 v4, v4, v8
	v_mul_f32_e32 v3, v10, v10
	v_cndmask_b32_e32 v4, v58, v4, vcc
	v_div_scale_f32 v8, s[4:5], v4, v4, v3
	v_div_scale_f32 v21, vcc, v3, v4, v3
	v_mov_b32_e32 v42, 0x3d2aabf7
	v_mov_b32_e32 v23, 0xbf000004
	v_rcp_f32_e32 v22, v8
	v_fma_f32 v24, -v8, v22, 1.0
	v_fmac_f32_e32 v22, v24, v22
	v_mul_f32_e32 v24, v21, v22
	v_fma_f32 v25, -v8, v24, v21
	v_fmac_f32_e32 v24, v25, v22
	v_fma_f32 v8, -v8, v24, v21
	v_div_fmas_f32 v8, v8, v22, v24
	v_div_fixup_f32 v21, v8, v4, v3
                                        ; implicit-def: $vgpr3
.LBB2_107:                              ;   in Loop: Header=BB2_34 Depth=2
	s_andn2_saveexec_b64 s[38:39], s[38:39]
	s_cbranch_execz .LBB2_119
; %bb.108:                              ;   in Loop: Header=BB2_34 Depth=2
	v_cmp_eq_u32_e32 vcc, 34, v3
	s_and_saveexec_b64 s[42:43], vcc
	s_cbranch_execz .LBB2_118
; %bb.109:                              ;   in Loop: Header=BB2_34 Depth=2
	s_waitcnt vmcnt(1)
	global_load_dword v4, v[55:56], off
	buffer_load_dword v21, off, s[96:99], 0 offset:344 ; 4-byte Folded Reload
	buffer_load_dword v22, off, s[96:99], 0 offset:348 ; 4-byte Folded Reload
                                        ; implicit-def: $vgpr10
                                        ; implicit-def: $vgpr24
	s_waitcnt vmcnt(2)
	v_add_f32_e32 v4, v4, v4
	s_waitcnt vmcnt(0)
	global_load_dword v3, v[21:22], off
	v_mul_f32_e32 v21, 0x40490fdb, v4
	v_and_b32_e32 v22, 0x7fffffff, v21
	v_lshrrev_b32_e32 v4, 23, v22
	v_and_b32_e32 v8, 0x7fffff, v22
	v_cmp_nlt_f32_e64 s[46:47], |v21|, s82
	v_add_u32_e32 v31, 0xffffff88, v4
	v_or_b32_e32 v30, 0x800000, v8
	s_and_saveexec_b64 s[4:5], s[46:47]
	s_xor_b64 s[48:49], exec, s[4:5]
	s_cbranch_execz .LBB2_111
; %bb.110:                              ;   in Loop: Header=BB2_34 Depth=2
	v_mad_u64_u32 v[24:25], s[4:5], v30, s83, 0
	v_cmp_lt_u32_e32 vcc, 63, v31
	v_mov_b32_e32 v4, v25
	v_mad_u64_u32 v[38:39], s[4:5], v30, s84, v[4:5]
	v_mov_b32_e32 v4, v39
	v_mad_u64_u32 v[39:40], s[4:5], v30, s85, v[4:5]
	;; [unrolled: 2-line block ×3, first 2 shown]
	v_cndmask_b32_e32 v4, 0, v1, vcc
	v_add_u32_e32 v8, v4, v31
	v_mov_b32_e32 v4, v46
	v_mad_u64_u32 v[50:51], s[4:5], v30, s87, v[4:5]
	v_cmp_lt_u32_e64 s[20:21], 31, v8
	v_cndmask_b32_e64 v4, 0, v13, s[20:21]
	v_add_u32_e32 v8, v4, v8
	v_mov_b32_e32 v4, v51
	v_mad_u64_u32 v[51:52], s[4:5], v30, s88, v[4:5]
	v_cmp_lt_u32_e64 s[22:23], 31, v8
	v_cndmask_b32_e64 v4, 0, v13, s[22:23]
	v_add_u32_e32 v8, v4, v8
	v_mov_b32_e32 v4, v52
	v_mad_u64_u32 v[52:53], s[4:5], v30, s89, v[4:5]
	v_cndmask_b32_e32 v4, v50, v39, vcc
	v_cndmask_b32_e32 v10, v51, v45, vcc
	;; [unrolled: 1-line block ×3, first 2 shown]
	buffer_load_dword v50, off, s[96:99], 0 ; 4-byte Folded Reload
	v_cndmask_b32_e32 v34, v53, v51, vcc
	buffer_load_dword v53, off, s[96:99], 0 offset:4 ; 4-byte Folded Reload
	v_cndmask_b32_e64 v25, v10, v4, s[20:21]
	v_cndmask_b32_e64 v10, v32, v10, s[20:21]
	;; [unrolled: 1-line block ×5, first 2 shown]
	v_sub_u32_e32 v34, 32, v8
	v_alignbit_b32 v40, v32, v10, v34
	v_cmp_eq_u32_e64 s[24:25], 0, v8
	v_cndmask_b32_e64 v8, v40, v32, s[24:25]
	v_cndmask_b32_e32 v32, v45, v38, vcc
	v_cndmask_b32_e64 v4, v4, v32, s[20:21]
	v_cndmask_b32_e64 v25, v25, v4, s[22:23]
	v_alignbit_b32 v38, v10, v25, v34
	v_cndmask_b32_e32 v24, v39, v24, vcc
	v_cndmask_b32_e64 v10, v38, v10, s[24:25]
	v_bfe_u32 v42, v8, 29, 1
	v_cndmask_b32_e64 v24, v32, v24, s[20:21]
	v_alignbit_b32 v38, v8, v10, 30
	v_sub_u32_e32 v45, 0, v42
	v_cndmask_b32_e64 v4, v4, v24, s[22:23]
	v_xor_b32_e32 v38, v38, v45
	v_alignbit_b32 v24, v25, v4, v34
	v_cndmask_b32_e64 v24, v24, v25, s[24:25]
	v_ffbh_u32_e32 v25, v38
	v_alignbit_b32 v10, v10, v24, 30
	v_min_u32_e32 v25, 32, v25
	v_alignbit_b32 v4, v24, v4, 30
	v_xor_b32_e32 v10, v10, v45
	v_sub_u32_e32 v32, 31, v25
	v_xor_b32_e32 v4, v4, v45
	v_alignbit_b32 v34, v38, v10, v32
	v_alignbit_b32 v4, v10, v4, v32
	;; [unrolled: 1-line block ×3, first 2 shown]
	v_ffbh_u32_e32 v24, v10
	v_min_u32_e32 v24, 32, v24
	v_lshrrev_b32_e32 v40, 29, v8
	v_not_b32_e32 v32, v24
	v_alignbit_b32 v4, v10, v4, v32
	v_lshlrev_b32_e32 v10, 31, v40
	v_or_b32_e32 v32, 0x33000000, v10
	v_add_lshl_u32 v24, v24, v25, 23
	v_lshrrev_b32_e32 v4, 9, v4
	v_sub_u32_e32 v24, v32, v24
	v_or_b32_e32 v10, 0.5, v10
	v_lshlrev_b32_e32 v25, 23, v25
	v_or_b32_e32 v4, v24, v4
	v_lshrrev_b32_e32 v24, 9, v34
	v_sub_u32_e32 v10, v10, v25
	v_or_b32_e32 v10, v24, v10
	v_mul_f32_e32 v24, 0x3fc90fda, v10
	v_fma_f32 v25, v10, s90, -v24
	v_fmac_f32_e32 v25, 0x33a22168, v10
	v_fmac_f32_e32 v25, 0x3fc90fda, v4
	v_lshrrev_b32_e32 v4, 30, v8
	v_add_f32_e32 v24, v24, v25
	v_add_u32_e32 v10, v42, v4
.LBB2_111:                              ;   in Loop: Header=BB2_34 Depth=2
	s_or_saveexec_b64 s[20:21], s[48:49]
	v_mul_f32_e64 v4, |v21|, s91
	v_rndne_f32_e32 v34, v4
	s_xor_b64 exec, exec, s[20:21]
; %bb.112:                              ;   in Loop: Header=BB2_34 Depth=2
	v_cvt_i32_f32_e32 v10, v34
	v_fma_f32 v24, v34, s92, |v21|
	v_fmac_f32_e32 v24, 0xb3a22168, v34
	v_fmac_f32_e32 v24, 0xa7c234c4, v34
; %bb.113:                              ;   in Loop: Header=BB2_34 Depth=2
	s_or_b64 exec, exec, s[20:21]
                                        ; implicit-def: $vgpr4
                                        ; implicit-def: $vgpr32
	s_and_saveexec_b64 s[4:5], s[46:47]
	s_xor_b64 s[46:47], exec, s[4:5]
	s_cbranch_execz .LBB2_115
; %bb.114:                              ;   in Loop: Header=BB2_34 Depth=2
	v_mad_u64_u32 v[38:39], s[4:5], v30, s83, 0
	v_cmp_lt_u32_e32 vcc, 63, v31
	v_mov_b32_e32 v4, v39
	v_mad_u64_u32 v[39:40], s[4:5], v30, s84, v[4:5]
	v_mov_b32_e32 v4, v40
	v_mad_u64_u32 v[45:46], s[4:5], v30, s85, v[4:5]
	v_mov_b32_e32 v4, v46
	s_waitcnt vmcnt(1)
	v_mad_u64_u32 v[50:51], s[4:5], v30, s86, v[4:5]
	v_cndmask_b32_e32 v4, 0, v1, vcc
	v_add_u32_e32 v8, v4, v31
	v_mov_b32_e32 v4, v51
	v_mad_u64_u32 v[31:32], s[4:5], v30, s87, v[4:5]
	v_cmp_lt_u32_e64 s[20:21], 31, v8
	v_cndmask_b32_e64 v4, 0, v13, s[20:21]
	v_add_u32_e32 v8, v4, v8
	v_mov_b32_e32 v4, v32
	v_mad_u64_u32 v[51:52], s[4:5], v30, s88, v[4:5]
	v_cmp_lt_u32_e64 s[22:23], 31, v8
	v_cndmask_b32_e64 v4, 0, v13, s[22:23]
	v_add_u32_e32 v8, v4, v8
	v_mov_b32_e32 v4, v52
	s_waitcnt vmcnt(0)
	v_mad_u64_u32 v[52:53], s[4:5], v30, s89, v[4:5]
	v_cndmask_b32_e32 v4, v31, v45, vcc
	v_cndmask_b32_e32 v25, v51, v50, vcc
	;; [unrolled: 1-line block ×4, first 2 shown]
	v_cndmask_b32_e64 v30, v25, v4, s[20:21]
	v_cndmask_b32_e64 v25, v31, v25, s[20:21]
	;; [unrolled: 1-line block ×5, first 2 shown]
	v_sub_u32_e32 v32, 32, v8
	v_alignbit_b32 v34, v31, v25, v32
	v_cmp_eq_u32_e64 s[24:25], 0, v8
	buffer_load_dword v53, off, s[96:99], 0 offset:4 ; 4-byte Folded Reload
	v_cndmask_b32_e64 v8, v34, v31, s[24:25]
	v_cndmask_b32_e32 v31, v50, v39, vcc
	buffer_load_dword v50, off, s[96:99], 0 ; 4-byte Folded Reload
	v_cndmask_b32_e64 v4, v4, v31, s[20:21]
	v_cndmask_b32_e64 v30, v30, v4, s[22:23]
	v_alignbit_b32 v34, v25, v30, v32
	v_cndmask_b32_e32 v38, v45, v38, vcc
	v_cndmask_b32_e64 v25, v34, v25, s[24:25]
	v_bfe_u32 v40, v8, 29, 1
	v_cndmask_b32_e64 v31, v31, v38, s[20:21]
	v_alignbit_b32 v34, v8, v25, 30
	v_sub_u32_e32 v42, 0, v40
	v_cndmask_b32_e64 v4, v4, v31, s[22:23]
	v_xor_b32_e32 v34, v34, v42
	v_alignbit_b32 v31, v30, v4, v32
	v_cndmask_b32_e64 v30, v31, v30, s[24:25]
	v_ffbh_u32_e32 v31, v34
	v_alignbit_b32 v25, v25, v30, 30
	v_min_u32_e32 v31, 32, v31
	v_alignbit_b32 v4, v30, v4, 30
	v_xor_b32_e32 v25, v25, v42
	v_sub_u32_e32 v32, 31, v31
	v_xor_b32_e32 v4, v4, v42
	v_alignbit_b32 v34, v34, v25, v32
	v_alignbit_b32 v4, v25, v4, v32
	;; [unrolled: 1-line block ×3, first 2 shown]
	v_ffbh_u32_e32 v30, v25
	v_min_u32_e32 v30, 32, v30
	v_lshrrev_b32_e32 v39, 29, v8
	v_not_b32_e32 v32, v30
	v_alignbit_b32 v4, v25, v4, v32
	v_lshlrev_b32_e32 v25, 31, v39
	v_or_b32_e32 v32, 0x33000000, v25
	v_add_lshl_u32 v30, v30, v31, 23
	v_lshrrev_b32_e32 v4, 9, v4
	v_sub_u32_e32 v30, v32, v30
	v_or_b32_e32 v25, 0.5, v25
	v_lshlrev_b32_e32 v31, 23, v31
	v_or_b32_e32 v4, v30, v4
	v_lshrrev_b32_e32 v30, 9, v34
	v_sub_u32_e32 v25, v25, v31
	v_or_b32_e32 v25, v30, v25
	v_mul_f32_e32 v30, 0x3fc90fda, v25
	v_fma_f32 v31, v25, s90, -v30
	v_fmac_f32_e32 v31, 0x33a22168, v25
	v_fmac_f32_e32 v31, 0x3fc90fda, v4
	v_lshrrev_b32_e32 v4, 30, v8
	v_add_f32_e32 v32, v30, v31
	v_add_u32_e32 v4, v40, v4
                                        ; implicit-def: $vgpr34
	s_andn2_saveexec_b64 s[20:21], s[46:47]
	s_cbranch_execnz .LBB2_116
	s_branch .LBB2_117
.LBB2_115:                              ;   in Loop: Header=BB2_34 Depth=2
	s_andn2_saveexec_b64 s[20:21], s[46:47]
.LBB2_116:                              ;   in Loop: Header=BB2_34 Depth=2
	v_cvt_i32_f32_e32 v4, v34
	v_fma_f32 v32, v34, s92, |v21|
	v_fmac_f32_e32 v32, 0xb3a22168, v34
	v_fmac_f32_e32 v32, 0xa7c234c4, v34
.LBB2_117:                              ;   in Loop: Header=BB2_34 Depth=2
	s_or_b64 exec, exec, s[20:21]
	v_mul_f32_e32 v8, v24, v24
	v_mov_b32_e32 v25, 0x3c0881c4
	v_fmac_f32_e32 v25, 0xb94c1982, v8
	v_fma_f32 v25, v8, v25, v57
	v_mul_f32_e32 v25, v8, v25
	v_fmac_f32_e32 v24, v24, v25
	v_mov_b32_e32 v25, 0xbab64f3b
	v_fmac_f32_e32 v25, 0x37d75334, v8
	v_mov_b32_e32 v23, 0x3d2aabf7
	v_fma_f32 v25, v8, v25, v23
	v_mov_b32_e32 v30, 0xbf000004
	v_fma_f32 v25, v8, v25, v30
	v_fma_f32 v8, v8, v25, 1.0
	v_and_b32_e32 v25, 1, v10
	v_cmp_eq_u32_e32 vcc, 0, v25
	v_lshlrev_b32_e32 v10, 30, v10
	v_cndmask_b32_e64 v8, -v24, v8, vcc
	v_and_b32_e32 v10, 0x80000000, v10
	v_xor_b32_e32 v8, v10, v8
	v_cmp_class_f32_e64 vcc, v21, s93
	v_cndmask_b32_e32 v8, v58, v8, vcc
	s_waitcnt vmcnt(0)
	v_mul_f32_e32 v10, v3, v8
	v_mul_f32_e32 v8, v32, v32
	v_mov_b32_e32 v24, 0x3c0881c4
	v_fmac_f32_e32 v24, 0xb94c1982, v8
	v_fma_f32 v24, v8, v24, v57
	v_mul_f32_e32 v24, v8, v24
	v_fmac_f32_e32 v32, v32, v24
	v_mov_b32_e32 v24, 0xbab64f3b
	v_fmac_f32_e32 v24, 0x37d75334, v8
	v_fma_f32 v24, v8, v24, v23
	v_fma_f32 v24, v8, v24, v30
	v_fma_f32 v8, v8, v24, 1.0
	v_and_b32_e32 v24, 1, v4
	v_lshlrev_b32_e32 v4, 30, v4
	v_cmp_eq_u32_e64 s[20:21], 0, v24
	v_and_b32_e32 v4, 0x80000000, v4
	v_xor_b32_e32 v21, v22, v21
	v_cndmask_b32_e64 v8, v8, v32, s[20:21]
	v_xor_b32_e32 v4, v21, v4
	v_xor_b32_e32 v4, v4, v8
	v_cndmask_b32_e32 v4, v58, v4, vcc
	v_mov_b32_e32 v42, 0x3d2aabf7
	v_mov_b32_e32 v23, 0xbf000004
	v_mul_f32_e32 v21, v3, v4
.LBB2_118:                              ;   in Loop: Header=BB2_34 Depth=2
	s_or_b64 exec, exec, s[42:43]
.LBB2_119:                              ;   in Loop: Header=BB2_34 Depth=2
	s_or_b64 exec, exec, s[38:39]
.LBB2_120:                              ;   in Loop: Header=BB2_34 Depth=2
	s_or_b64 exec, exec, s[36:37]
.LBB2_121:                              ;   in Loop: Header=BB2_34 Depth=2
	s_or_b64 exec, exec, s[34:35]
                                        ; implicit-def: $vgpr3
.LBB2_122:                              ;   in Loop: Header=BB2_34 Depth=2
	s_andn2_saveexec_b64 s[30:31], s[30:31]
	s_cbranch_execz .LBB2_180
; %bb.123:                              ;   in Loop: Header=BB2_34 Depth=2
	v_cmp_lt_i32_e32 vcc, 21, v3
	s_and_saveexec_b64 s[4:5], vcc
	s_xor_b64 s[34:35], exec, s[4:5]
	s_cbranch_execz .LBB2_161
; %bb.124:                              ;   in Loop: Header=BB2_34 Depth=2
	v_cmp_lt_i32_e32 vcc, 27, v3
	s_and_saveexec_b64 s[4:5], vcc
	s_xor_b64 s[36:37], exec, s[4:5]
	;; [unrolled: 5-line block ×4, first 2 shown]
	s_cbranch_execz .LBB2_138
; %bb.127:                              ;   in Loop: Header=BB2_34 Depth=2
	v_cmp_eq_u32_e32 vcc, 31, v3
	s_and_saveexec_b64 s[46:47], vcc
	s_cbranch_execz .LBB2_137
; %bb.128:                              ;   in Loop: Header=BB2_34 Depth=2
	s_waitcnt vmcnt(1)
	global_load_dword v3, v[55:56], off
	buffer_load_dword v22, off, s[96:99], 0 offset:344 ; 4-byte Folded Reload
	buffer_load_dword v23, off, s[96:99], 0 offset:348 ; 4-byte Folded Reload
                                        ; implicit-def: $vgpr30
                                        ; implicit-def: $vgpr31
	s_waitcnt vmcnt(2)
	v_add_f32_e32 v3, v3, v3
	s_waitcnt vmcnt(0)
	global_load_dword v24, v[22:23], off
	v_mul_f32_e32 v3, 0x40490fdb, v3
	v_and_b32_e32 v22, 0x7fffffff, v3
	v_lshrrev_b32_e32 v4, 23, v22
	v_and_b32_e32 v8, 0x7fffff, v22
	v_cmp_nlt_f32_e64 s[48:49], |v3|, s82
	v_add_u32_e32 v34, 0xffffff88, v4
	v_or_b32_e32 v32, 0x800000, v8
	s_and_saveexec_b64 s[4:5], s[48:49]
	s_xor_b64 s[50:51], exec, s[4:5]
	s_cbranch_execz .LBB2_130
; %bb.129:                              ;   in Loop: Header=BB2_34 Depth=2
	v_mad_u64_u32 v[30:31], s[4:5], v32, s83, 0
	v_cmp_lt_u32_e32 vcc, 63, v34
	v_mov_b32_e32 v4, v31
	v_mad_u64_u32 v[38:39], s[4:5], v32, s84, v[4:5]
	v_mov_b32_e32 v4, v39
	v_mad_u64_u32 v[39:40], s[4:5], v32, s85, v[4:5]
	;; [unrolled: 2-line block ×3, first 2 shown]
	v_cndmask_b32_e32 v4, 0, v1, vcc
	v_add_u32_e32 v8, v4, v34
	v_mov_b32_e32 v4, v46
	v_mad_u64_u32 v[50:51], s[4:5], v32, s87, v[4:5]
	v_cmp_lt_u32_e64 s[20:21], 31, v8
	v_cndmask_b32_e64 v4, 0, v13, s[20:21]
	v_add_u32_e32 v8, v4, v8
	v_mov_b32_e32 v4, v51
	v_mad_u64_u32 v[51:52], s[4:5], v32, s88, v[4:5]
	v_cmp_lt_u32_e64 s[22:23], 31, v8
	v_cndmask_b32_e64 v4, 0, v13, s[22:23]
	v_add_u32_e32 v8, v4, v8
	v_mov_b32_e32 v4, v52
	v_mad_u64_u32 v[52:53], s[4:5], v32, s89, v[4:5]
	v_cndmask_b32_e32 v4, v50, v39, vcc
	v_cndmask_b32_e32 v25, v51, v45, vcc
	v_cndmask_b32_e32 v40, v52, v50, vcc
	v_cndmask_b32_e32 v42, v53, v51, vcc
	v_cndmask_b32_e64 v31, v25, v4, s[20:21]
	v_cndmask_b32_e64 v25, v40, v25, s[20:21]
	v_cndmask_b32_e64 v40, v42, v40, s[20:21]
	v_cndmask_b32_e32 v38, v45, v38, vcc
	v_cndmask_b32_e32 v30, v39, v30, vcc
	v_cndmask_b32_e64 v40, v40, v25, s[22:23]
	v_cndmask_b32_e64 v25, v25, v31, s[22:23]
	v_sub_u32_e32 v42, 32, v8
	v_cndmask_b32_e64 v4, v4, v38, s[20:21]
	v_cndmask_b32_e64 v30, v38, v30, s[20:21]
	v_alignbit_b32 v46, v40, v25, v42
	v_cmp_eq_u32_e64 s[24:25], 0, v8
	v_cndmask_b32_e64 v31, v31, v4, s[22:23]
	v_cndmask_b32_e64 v4, v4, v30, s[22:23]
	;; [unrolled: 1-line block ×3, first 2 shown]
	v_alignbit_b32 v40, v25, v31, v42
	v_alignbit_b32 v30, v31, v4, v42
	v_cndmask_b32_e64 v25, v40, v25, s[24:25]
	v_bfe_u32 v46, v8, 29, 1
	v_cndmask_b32_e64 v30, v30, v31, s[24:25]
	v_alignbit_b32 v40, v8, v25, 30
	v_sub_u32_e32 v50, 0, v46
	v_alignbit_b32 v25, v25, v30, 30
	v_alignbit_b32 v4, v30, v4, 30
	buffer_load_dword v53, off, s[96:99], 0 offset:4 ; 4-byte Folded Reload
	v_xor_b32_e32 v40, v40, v50
	v_xor_b32_e32 v25, v25, v50
	;; [unrolled: 1-line block ×3, first 2 shown]
	buffer_load_dword v50, off, s[96:99], 0 ; 4-byte Folded Reload
	v_ffbh_u32_e32 v31, v40
	v_min_u32_e32 v31, 32, v31
	v_sub_u32_e32 v38, 31, v31
	v_alignbit_b32 v39, v40, v25, v38
	v_alignbit_b32 v4, v25, v4, v38
	;; [unrolled: 1-line block ×3, first 2 shown]
	v_ffbh_u32_e32 v30, v25
	v_min_u32_e32 v30, 32, v30
	v_lshrrev_b32_e32 v45, 29, v8
	v_not_b32_e32 v38, v30
	v_alignbit_b32 v4, v25, v4, v38
	v_lshlrev_b32_e32 v25, 31, v45
	v_or_b32_e32 v38, 0x33000000, v25
	v_add_lshl_u32 v30, v30, v31, 23
	v_lshrrev_b32_e32 v4, 9, v4
	v_sub_u32_e32 v30, v38, v30
	v_or_b32_e32 v25, 0.5, v25
	v_lshlrev_b32_e32 v31, 23, v31
	v_or_b32_e32 v4, v30, v4
	v_lshrrev_b32_e32 v30, 9, v39
	v_sub_u32_e32 v25, v25, v31
	v_or_b32_e32 v25, v30, v25
	v_mul_f32_e32 v30, 0x3fc90fda, v25
	v_fma_f32 v31, v25, s90, -v30
	v_fmac_f32_e32 v31, 0x33a22168, v25
	v_fmac_f32_e32 v31, 0x3fc90fda, v4
	v_lshrrev_b32_e32 v4, 30, v8
	v_add_f32_e32 v31, v30, v31
	v_add_u32_e32 v30, v46, v4
.LBB2_130:                              ;   in Loop: Header=BB2_34 Depth=2
	s_or_saveexec_b64 s[20:21], s[50:51]
	v_mul_f32_e64 v4, |v3|, s91
	v_rndne_f32_e32 v39, v4
	s_xor_b64 exec, exec, s[20:21]
; %bb.131:                              ;   in Loop: Header=BB2_34 Depth=2
	v_cvt_i32_f32_e32 v30, v39
	v_fma_f32 v31, v39, s92, |v3|
	v_fmac_f32_e32 v31, 0xb3a22168, v39
	v_fmac_f32_e32 v31, 0xa7c234c4, v39
; %bb.132:                              ;   in Loop: Header=BB2_34 Depth=2
	s_or_b64 exec, exec, s[20:21]
                                        ; implicit-def: $vgpr4
                                        ; implicit-def: $vgpr38
	s_and_saveexec_b64 s[4:5], s[48:49]
	s_xor_b64 s[48:49], exec, s[4:5]
	s_cbranch_execz .LBB2_134
; %bb.133:                              ;   in Loop: Header=BB2_34 Depth=2
	v_mad_u64_u32 v[38:39], s[4:5], v32, s83, 0
	v_cmp_lt_u32_e32 vcc, 63, v34
	v_mov_b32_e32 v4, v39
	v_mad_u64_u32 v[39:40], s[4:5], v32, s84, v[4:5]
	v_mov_b32_e32 v4, v40
	v_mad_u64_u32 v[45:46], s[4:5], v32, s85, v[4:5]
	v_mov_b32_e32 v4, v46
	s_waitcnt vmcnt(0)
	v_mad_u64_u32 v[50:51], s[4:5], v32, s86, v[4:5]
	v_cndmask_b32_e32 v4, 0, v1, vcc
	v_add_u32_e32 v8, v4, v34
	v_mov_b32_e32 v4, v51
	v_mad_u64_u32 v[51:52], s[4:5], v32, s87, v[4:5]
	v_cmp_lt_u32_e64 s[20:21], 31, v8
	v_cndmask_b32_e64 v4, 0, v13, s[20:21]
	v_add_u32_e32 v8, v4, v8
	v_mov_b32_e32 v4, v52
	v_mad_u64_u32 v[52:53], s[4:5], v32, s88, v[4:5]
	v_cmp_lt_u32_e64 s[22:23], 31, v8
	v_cndmask_b32_e64 v4, 0, v13, s[22:23]
	v_add_u32_e32 v8, v4, v8
	v_mov_b32_e32 v4, v53
	v_mad_u64_u32 v[55:56], s[4:5], v32, s89, v[4:5]
	v_cndmask_b32_e32 v4, v51, v45, vcc
	v_cndmask_b32_e32 v25, v52, v50, vcc
	;; [unrolled: 1-line block ×4, first 2 shown]
	v_cndmask_b32_e64 v32, v25, v4, s[20:21]
	v_cndmask_b32_e64 v25, v34, v25, s[20:21]
	;; [unrolled: 1-line block ×5, first 2 shown]
	v_sub_u32_e32 v40, 32, v8
	v_alignbit_b32 v42, v34, v25, v40
	v_cmp_eq_u32_e64 s[24:25], 0, v8
	v_cndmask_b32_e64 v8, v42, v34, s[24:25]
	v_cndmask_b32_e32 v34, v50, v39, vcc
	v_cndmask_b32_e32 v38, v45, v38, vcc
	v_cndmask_b32_e64 v4, v4, v34, s[20:21]
	v_cndmask_b32_e64 v34, v34, v38, s[20:21]
	;; [unrolled: 1-line block ×4, first 2 shown]
	v_alignbit_b32 v39, v25, v32, v40
	v_alignbit_b32 v34, v32, v4, v40
	v_cndmask_b32_e64 v25, v39, v25, s[24:25]
	v_bfe_u32 v46, v8, 29, 1
	v_cndmask_b32_e64 v32, v34, v32, s[24:25]
	buffer_load_dword v53, off, s[96:99], 0 offset:4 ; 4-byte Folded Reload
	buffer_load_dword v55, off, s[96:99], 0 offset:180 ; 4-byte Folded Reload
	;; [unrolled: 1-line block ×3, first 2 shown]
	v_alignbit_b32 v39, v8, v25, 30
	v_sub_u32_e32 v50, 0, v46
	v_alignbit_b32 v25, v25, v32, 30
	v_alignbit_b32 v4, v32, v4, 30
	v_xor_b32_e32 v39, v39, v50
	v_xor_b32_e32 v25, v25, v50
	;; [unrolled: 1-line block ×3, first 2 shown]
	buffer_load_dword v50, off, s[96:99], 0 ; 4-byte Folded Reload
	v_ffbh_u32_e32 v34, v39
	v_min_u32_e32 v34, 32, v34
	v_sub_u32_e32 v38, 31, v34
	v_alignbit_b32 v39, v39, v25, v38
	v_alignbit_b32 v4, v25, v4, v38
	;; [unrolled: 1-line block ×3, first 2 shown]
	v_ffbh_u32_e32 v32, v25
	v_min_u32_e32 v32, 32, v32
	v_lshrrev_b32_e32 v42, 29, v8
	v_not_b32_e32 v38, v32
	v_alignbit_b32 v4, v25, v4, v38
	v_lshlrev_b32_e32 v25, 31, v42
	v_or_b32_e32 v38, 0x33000000, v25
	v_add_lshl_u32 v32, v32, v34, 23
	v_lshrrev_b32_e32 v4, 9, v4
	v_sub_u32_e32 v32, v38, v32
	v_or_b32_e32 v25, 0.5, v25
	v_lshlrev_b32_e32 v34, 23, v34
	v_or_b32_e32 v4, v32, v4
	v_lshrrev_b32_e32 v32, 9, v39
	v_sub_u32_e32 v25, v25, v34
	v_or_b32_e32 v25, v32, v25
	v_mul_f32_e32 v32, 0x3fc90fda, v25
	v_fma_f32 v34, v25, s90, -v32
	v_fmac_f32_e32 v34, 0x33a22168, v25
	v_fmac_f32_e32 v34, 0x3fc90fda, v4
	v_lshrrev_b32_e32 v4, 30, v8
	v_add_f32_e32 v38, v32, v34
	v_add_u32_e32 v4, v46, v4
                                        ; implicit-def: $vgpr39
	s_andn2_saveexec_b64 s[20:21], s[48:49]
	s_cbranch_execnz .LBB2_135
	s_branch .LBB2_136
.LBB2_134:                              ;   in Loop: Header=BB2_34 Depth=2
	s_andn2_saveexec_b64 s[20:21], s[48:49]
.LBB2_135:                              ;   in Loop: Header=BB2_34 Depth=2
	v_cvt_i32_f32_e32 v4, v39
	v_fma_f32 v38, v39, s92, |v3|
	v_fmac_f32_e32 v38, 0xb3a22168, v39
	v_fmac_f32_e32 v38, 0xa7c234c4, v39
.LBB2_136:                              ;   in Loop: Header=BB2_34 Depth=2
	s_or_b64 exec, exec, s[20:21]
	s_waitcnt vmcnt(0)
	v_mul_f32_e32 v8, v10, v24
	v_mul_f32_e32 v10, v31, v31
	v_mov_b32_e32 v25, 0x3c0881c4
	v_fmac_f32_e32 v25, 0xb94c1982, v10
	v_fma_f32 v25, v10, v25, v57
	v_mul_f32_e32 v25, v10, v25
	v_fmac_f32_e32 v31, v31, v25
	v_mov_b32_e32 v25, 0xbab64f3b
	v_fmac_f32_e32 v25, 0x37d75334, v10
	v_mov_b32_e32 v23, 0x3d2aabf7
	v_fma_f32 v25, v10, v25, v23
	v_mov_b32_e32 v32, 0xbf000004
	v_fma_f32 v25, v10, v25, v32
	v_fma_f32 v10, v10, v25, 1.0
	v_and_b32_e32 v25, 1, v30
	v_cmp_eq_u32_e32 vcc, 0, v25
	v_lshlrev_b32_e32 v25, 30, v30
	v_cndmask_b32_e64 v10, -v31, v10, vcc
	v_and_b32_e32 v25, 0x80000000, v25
	v_xor_b32_e32 v10, v25, v10
	v_cmp_class_f32_e64 vcc, v3, s93
	v_cndmask_b32_e32 v10, v58, v10, vcc
	v_mul_f32_e32 v10, v8, v10
	v_mul_f32_e32 v8, v21, v24
	;; [unrolled: 1-line block ×3, first 2 shown]
	v_mov_b32_e32 v24, 0x3c0881c4
	v_fmac_f32_e32 v24, 0xb94c1982, v21
	v_fma_f32 v24, v21, v24, v57
	v_mul_f32_e32 v24, v21, v24
	v_fmac_f32_e32 v38, v38, v24
	v_mov_b32_e32 v24, 0xbab64f3b
	v_fmac_f32_e32 v24, 0x37d75334, v21
	v_fma_f32 v24, v21, v24, v23
	v_fma_f32 v24, v21, v24, v32
	v_fma_f32 v21, v21, v24, 1.0
	v_and_b32_e32 v24, 1, v4
	v_lshlrev_b32_e32 v4, 30, v4
	v_cmp_eq_u32_e64 s[20:21], 0, v24
	v_and_b32_e32 v4, 0x80000000, v4
	v_xor_b32_e32 v3, v22, v3
	v_cndmask_b32_e64 v21, v21, v38, s[20:21]
	v_xor_b32_e32 v3, v3, v4
	v_xor_b32_e32 v3, v3, v21
	v_cndmask_b32_e32 v3, v58, v3, vcc
	v_mov_b32_e32 v42, 0x3d2aabf7
	v_mov_b32_e32 v23, 0xbf000004
	v_mul_f32_e32 v21, v8, v3
.LBB2_137:                              ;   in Loop: Header=BB2_34 Depth=2
	s_or_b64 exec, exec, s[46:47]
                                        ; implicit-def: $vgpr3
.LBB2_138:                              ;   in Loop: Header=BB2_34 Depth=2
	s_andn2_saveexec_b64 s[20:21], s[42:43]
	s_cbranch_execz .LBB2_142
; %bb.139:                              ;   in Loop: Header=BB2_34 Depth=2
	v_cmp_eq_u32_e32 vcc, 29, v3
	s_and_saveexec_b64 s[22:23], vcc
	s_cbranch_execz .LBB2_141
; %bb.140:                              ;   in Loop: Header=BB2_34 Depth=2
	buffer_load_dword v10, off, s[96:99], 0 offset:20 ; 4-byte Folded Reload
	s_waitcnt vmcnt(2)
	v_mov_b32_e32 v21, v54
.LBB2_141:                              ;   in Loop: Header=BB2_34 Depth=2
	s_or_b64 exec, exec, s[22:23]
.LBB2_142:                              ;   in Loop: Header=BB2_34 Depth=2
	s_or_b64 exec, exec, s[20:21]
.LBB2_143:                              ;   in Loop: Header=BB2_34 Depth=2
	s_andn2_saveexec_b64 s[20:21], s[38:39]
	s_cbranch_execz .LBB2_145
; %bb.144:                              ;   in Loop: Header=BB2_34 Depth=2
	buffer_load_dword v21, off, s[96:99], 0 offset:196 ; 4-byte Folded Reload
	buffer_load_dword v10, off, s[96:99], 0 offset:192 ; 4-byte Folded Reload
.LBB2_145:                              ;   in Loop: Header=BB2_34 Depth=2
	s_or_b64 exec, exec, s[20:21]
                                        ; implicit-def: $vgpr3
.LBB2_146:                              ;   in Loop: Header=BB2_34 Depth=2
	s_andn2_saveexec_b64 s[20:21], s[36:37]
	s_cbranch_execz .LBB2_160
; %bb.147:                              ;   in Loop: Header=BB2_34 Depth=2
	v_cmp_lt_i32_e32 vcc, 26, v3
	s_and_saveexec_b64 s[4:5], vcc
	s_xor_b64 s[22:23], exec, s[4:5]
; %bb.148:                              ;   in Loop: Header=BB2_34 Depth=2
                                        ; implicit-def: $vgpr21
                                        ; implicit-def: $vgpr10
                                        ; implicit-def: $vgpr3
; %bb.149:                              ;   in Loop: Header=BB2_34 Depth=2
	s_or_saveexec_b64 s[22:23], s[22:23]
	buffer_load_dword v4, off, s[96:99], 0 offset:16 ; 4-byte Folded Reload
	buffer_load_dword v22, off, s[96:99], 0 offset:12 ; 4-byte Folded Reload
	s_xor_b64 exec, exec, s[22:23]
	s_cbranch_execz .LBB2_159
; %bb.150:                              ;   in Loop: Header=BB2_34 Depth=2
	v_cmp_eq_u32_e32 vcc, 22, v3
	s_and_saveexec_b64 s[24:25], vcc
	s_cbranch_execz .LBB2_158
; %bb.151:                              ;   in Loop: Header=BB2_34 Depth=2
	buffer_load_dword v3, off, s[96:99], 0 offset:124 ; 4-byte Folded Reload
	s_and_saveexec_b64 s[36:37], s[40:41]
	s_cbranch_execz .LBB2_157
; %bb.152:                              ;   in Loop: Header=BB2_34 Depth=2
	buffer_load_dword v3, off, s[96:99], 0 offset:132 ; 4-byte Folded Reload
	s_waitcnt vmcnt(3)
	v_mov_b32_e32 v4, v12
	s_and_saveexec_b64 s[38:39], s[8:9]
	s_cbranch_execz .LBB2_156
; %bb.153:                              ;   in Loop: Header=BB2_34 Depth=2
	buffer_load_dword v3, off, s[96:99], 0 offset:132 ; 4-byte Folded Reload
	buffer_load_dword v10, off, s[96:99], 0 offset:244 ; 4-byte Folded Reload
	s_mov_b64 s[42:43], 0
	v_mov_b32_e32 v4, v12
.LBB2_154:                              ;   Parent Loop BB2_2 Depth=1
                                        ;     Parent Loop BB2_34 Depth=2
                                        ; =>    This Inner Loop Header: Depth=3
	s_waitcnt vmcnt(0)
	v_mul_f32_e32 v8, v10, v3
	v_rndne_f32_e32 v8, v8
	v_fma_f32 v3, -v8, v59, v3
	v_add_f32_e32 v8, v59, v3
	v_cmp_gt_f32_e32 vcc, 0, v3
	v_cndmask_b32_e32 v3, v3, v8, vcc
	v_cmp_gt_u32_e32 vcc, 25, v4
	v_ldexp_f32 v3, v3, 12
	s_or_b64 s[42:43], vcc, s[42:43]
	v_add_u32_e32 v4, -12, v4
	s_andn2_b64 exec, exec, s[42:43]
	s_cbranch_execnz .LBB2_154
; %bb.155:                              ;   in Loop: Header=BB2_34 Depth=2
	s_or_b64 exec, exec, s[42:43]
.LBB2_156:                              ;   in Loop: Header=BB2_34 Depth=2
	s_or_b64 exec, exec, s[38:39]
	v_add_u32_e32 v4, -11, v4
	s_waitcnt vmcnt(0)
	v_ldexp_f32 v3, v3, v4
	buffer_load_dword v4, off, s[96:99], 0 offset:244 ; 4-byte Folded Reload
	s_waitcnt vmcnt(0)
	v_mul_f32_e32 v4, v4, v3
	v_rndne_f32_e32 v4, v4
	v_fma_f32 v3, -v4, v59, v3
	v_add_f32_e32 v4, v59, v3
	v_cmp_gt_f32_e32 vcc, 0, v3
	v_cndmask_b32_e32 v3, v3, v4, vcc
	buffer_load_dword v4, off, s[96:99], 0 offset:248 ; 4-byte Folded Reload
	s_waitcnt vmcnt(0)
	v_add_u32_e32 v4, -1, v4
	v_ldexp_f32 v3, v3, v4
	buffer_load_dword v4, off, s[96:99], 0 offset:136 ; 4-byte Folded Reload
	s_waitcnt vmcnt(0)
	v_xor_b32_e32 v3, v4, v3
.LBB2_157:                              ;   in Loop: Header=BB2_34 Depth=2
	s_or_b64 exec, exec, s[36:37]
	buffer_load_dword v4, off, s[96:99], 0 offset:236 ; 4-byte Folded Reload
	v_readlane_b32 s4, v63, 1
	v_readlane_b32 s5, v63, 2
	s_waitcnt vmcnt(1)
	v_cndmask_b32_e64 v3, v3, v58, s[4:5]
	v_cndmask_b32_e64 v3, v58, v3, s[10:11]
	v_and_b32_e32 v22, 0x7fffffff, v37
	v_cndmask_b32_e64 v24, 0, 1, s[14:15]
	v_cndmask_b32_e64 v25, 0, 1, s[12:13]
	s_waitcnt vmcnt(0)
	v_cmp_gt_f32_e32 vcc, v3, v4
	v_cndmask_b32_e32 v3, v27, v11, vcc
	v_cndmask_b32_e32 v4, v16, v6, vcc
	;; [unrolled: 1-line block ×8, first 2 shown]
	v_cmp_eq_u32_e32 vcc, 0, v4
	v_xor_b32_e32 v3, v3, v21
	v_and_b32_e32 v24, 1, v24
	v_cndmask_b32_e32 v4, v8, v10, vcc
	v_xor_b32_e32 v3, v3, v22
	v_xor_b32_e32 v3, v3, v4
	v_cmp_eq_u32_e32 vcc, 1, v24
	v_cndmask_b32_e32 v3, v58, v3, vcc
	v_mul_f32_e32 v21, v36, v3
	v_mul_f32_e32 v10, v36, v25
.LBB2_158:                              ;   in Loop: Header=BB2_34 Depth=2
	s_or_b64 exec, exec, s[24:25]
	s_waitcnt vmcnt(1)
	v_mov_b32_e32 v4, v21
	s_waitcnt vmcnt(0)
	v_mov_b32_e32 v22, v10
.LBB2_159:                              ;   in Loop: Header=BB2_34 Depth=2
	s_or_b64 exec, exec, s[22:23]
	s_waitcnt vmcnt(1)
	v_mov_b32_e32 v21, v4
	s_waitcnt vmcnt(0)
	v_mov_b32_e32 v10, v22
.LBB2_160:                              ;   in Loop: Header=BB2_34 Depth=2
	s_or_b64 exec, exec, s[20:21]
                                        ; implicit-def: $vgpr3
.LBB2_161:                              ;   in Loop: Header=BB2_34 Depth=2
	s_andn2_saveexec_b64 s[20:21], s[34:35]
	s_cbranch_execz .LBB2_179
; %bb.162:                              ;   in Loop: Header=BB2_34 Depth=2
	v_cmp_lt_i32_e32 vcc, 19, v3
                                        ; implicit-def: $vgpr21
                                        ; implicit-def: $vgpr10
	s_and_saveexec_b64 s[4:5], vcc
	s_xor_b64 s[22:23], exec, s[4:5]
	s_cbranch_execz .LBB2_174
; %bb.163:                              ;   in Loop: Header=BB2_34 Depth=2
	v_cmp_lt_i32_e32 vcc, 20, v3
                                        ; implicit-def: $vgpr21
                                        ; implicit-def: $vgpr10
	s_and_saveexec_b64 s[4:5], vcc
	s_xor_b64 s[24:25], exec, s[4:5]
	s_cbranch_execz .LBB2_171
; %bb.164:                              ;   in Loop: Header=BB2_34 Depth=2
	buffer_load_dword v3, off, s[96:99], 0 offset:100 ; 4-byte Folded Reload
	s_and_saveexec_b64 s[34:35], s[44:45]
	s_cbranch_execz .LBB2_170
; %bb.165:                              ;   in Loop: Header=BB2_34 Depth=2
	buffer_load_dword v3, off, s[96:99], 0 offset:112 ; 4-byte Folded Reload
	v_mov_b32_e32 v4, v20
	s_and_saveexec_b64 s[36:37], s[16:17]
	s_cbranch_execz .LBB2_169
; %bb.166:                              ;   in Loop: Header=BB2_34 Depth=2
	buffer_load_dword v3, off, s[96:99], 0 offset:112 ; 4-byte Folded Reload
	s_mov_b64 s[38:39], 0
	v_mov_b32_e32 v4, v20
.LBB2_167:                              ;   Parent Loop BB2_2 Depth=1
                                        ;     Parent Loop BB2_34 Depth=2
                                        ; =>    This Inner Loop Header: Depth=3
	s_waitcnt vmcnt(0)
	v_mul_f32_e32 v8, v50, v3
	v_rndne_f32_e32 v8, v8
	v_fma_f32 v3, -v8, v53, v3
	v_add_f32_e32 v8, v53, v3
	v_cmp_gt_f32_e32 vcc, 0, v3
	v_cndmask_b32_e32 v3, v3, v8, vcc
	v_cmp_gt_u32_e32 vcc, 25, v4
	v_ldexp_f32 v3, v3, 12
	s_or_b64 s[38:39], vcc, s[38:39]
	v_add_u32_e32 v4, -12, v4
	s_andn2_b64 exec, exec, s[38:39]
	s_cbranch_execnz .LBB2_167
; %bb.168:                              ;   in Loop: Header=BB2_34 Depth=2
	s_or_b64 exec, exec, s[38:39]
.LBB2_169:                              ;   in Loop: Header=BB2_34 Depth=2
	s_or_b64 exec, exec, s[36:37]
	v_add_u32_e32 v4, -11, v4
	s_waitcnt vmcnt(0)
	v_ldexp_f32 v3, v3, v4
	v_mul_f32_e32 v4, v50, v3
	v_rndne_f32_e32 v4, v4
	v_fma_f32 v3, -v4, v53, v3
	v_add_f32_e32 v4, v53, v3
	v_cmp_gt_f32_e32 vcc, 0, v3
	v_cndmask_b32_e32 v3, v3, v4, vcc
	buffer_load_dword v4, off, s[96:99], 0 offset:240 ; 4-byte Folded Reload
	s_waitcnt vmcnt(0)
	v_add_u32_e32 v4, -1, v4
	v_ldexp_f32 v3, v3, v4
	buffer_load_dword v4, off, s[96:99], 0 offset:128 ; 4-byte Folded Reload
	s_waitcnt vmcnt(0)
	v_xor_b32_e32 v3, v4, v3
.LBB2_170:                              ;   in Loop: Header=BB2_34 Depth=2
	s_or_b64 exec, exec, s[34:35]
	buffer_load_dword v4, off, s[96:99], 0 offset:188 ; 4-byte Folded Reload
	v_readlane_b32 s4, v63, 3
	v_readlane_b32 s5, v63, 4
	s_waitcnt vmcnt(1)
	v_cndmask_b32_e64 v3, v3, v58, s[4:5]
	v_cndmask_b32_e64 v3, v58, v3, s[18:19]
	s_waitcnt vmcnt(0)
	v_sub_f32_e32 v3, v3, v4
	buffer_load_dword v4, off, s[96:99], 0 offset:104 ; 4-byte Folded Reload
	s_waitcnt vmcnt(0)
	v_add_f32_e32 v3, v4, v3
	buffer_load_dword v4, off, s[96:99], 0 offset:48 ; 4-byte Folded Reload
	v_mul_f32_e32 v10, v49, v3
	s_waitcnt vmcnt(0)
	v_mul_f32_e32 v21, v4, v3
.LBB2_171:                              ;   in Loop: Header=BB2_34 Depth=2
	s_andn2_saveexec_b64 s[24:25], s[24:25]
	s_cbranch_execz .LBB2_173
; %bb.172:                              ;   in Loop: Header=BB2_34 Depth=2
	buffer_load_dword v21, off, s[96:99], 0 offset:88 ; 4-byte Folded Reload
	buffer_load_dword v10, off, s[96:99], 0 offset:84 ; 4-byte Folded Reload
.LBB2_173:                              ;   in Loop: Header=BB2_34 Depth=2
	s_or_b64 exec, exec, s[24:25]
                                        ; implicit-def: $vgpr3
.LBB2_174:                              ;   in Loop: Header=BB2_34 Depth=2
	s_andn2_saveexec_b64 s[22:23], s[22:23]
	s_cbranch_execz .LBB2_178
; %bb.175:                              ;   in Loop: Header=BB2_34 Depth=2
	v_cmp_lt_i32_e32 vcc, 18, v3
	s_and_saveexec_b64 s[4:5], vcc
	s_xor_b64 s[24:25], exec, s[4:5]
	s_or_saveexec_b64 s[24:25], s[24:25]
	buffer_load_dword v21, off, s[96:99], 0 offset:36 ; 4-byte Folded Reload
	buffer_load_dword v10, off, s[96:99], 0 offset:32 ; 4-byte Folded Reload
	s_xor_b64 exec, exec, s[24:25]
	s_cbranch_execz .LBB2_177
; %bb.176:                              ;   in Loop: Header=BB2_34 Depth=2
	buffer_load_dword v21, off, s[96:99], 0 offset:108 ; 4-byte Folded Reload
	buffer_load_dword v10, off, s[96:99], 0 offset:92 ; 4-byte Folded Reload
.LBB2_177:                              ;   in Loop: Header=BB2_34 Depth=2
	s_or_b64 exec, exec, s[24:25]
.LBB2_178:                              ;   in Loop: Header=BB2_34 Depth=2
	s_or_b64 exec, exec, s[22:23]
.LBB2_179:                              ;   in Loop: Header=BB2_34 Depth=2
	s_or_b64 exec, exec, s[20:21]
.LBB2_180:                              ;   in Loop: Header=BB2_34 Depth=2
	s_or_b64 exec, exec, s[30:31]
                                        ; implicit-def: $vgpr3
.LBB2_181:                              ;   in Loop: Header=BB2_34 Depth=2
	s_andn2_saveexec_b64 s[28:29], s[28:29]
	s_cbranch_execz .LBB2_32
; %bb.182:                              ;   in Loop: Header=BB2_34 Depth=2
	v_cmp_lt_i32_e32 vcc, 8, v3
                                        ; implicit-def: $vgpr4
                                        ; implicit-def: $vgpr22
	s_and_saveexec_b64 s[4:5], vcc
	s_xor_b64 s[30:31], exec, s[4:5]
	s_cbranch_execz .LBB2_226
; %bb.183:                              ;   in Loop: Header=BB2_34 Depth=2
	v_cmp_lt_i32_e32 vcc, 12, v3
                                        ; implicit-def: $vgpr4
                                        ; implicit-def: $vgpr22
	s_and_saveexec_b64 s[4:5], vcc
	s_xor_b64 s[34:35], exec, s[4:5]
	;; [unrolled: 7-line block ×4, first 2 shown]
	s_cbranch_execz .LBB2_189
; %bb.186:                              ;   in Loop: Header=BB2_34 Depth=2
	v_cmp_lt_i32_e32 vcc, 16, v3
	s_and_saveexec_b64 s[4:5], vcc
	s_xor_b64 s[24:25], exec, s[4:5]
	s_or_saveexec_b64 s[24:25], s[24:25]
	v_mov_b32_e32 v4, v17
	v_mov_b32_e32 v22, v33
	s_xor_b64 exec, exec, s[24:25]
	s_cbranch_execz .LBB2_188
; %bb.187:                              ;   in Loop: Header=BB2_34 Depth=2
	buffer_load_dword v4, off, s[96:99], 0 offset:12 ; 4-byte Folded Reload
	buffer_load_dword v22, off, s[96:99], 0 offset:16 ; 4-byte Folded Reload
.LBB2_188:                              ;   in Loop: Header=BB2_34 Depth=2
	s_or_b64 exec, exec, s[24:25]
.LBB2_189:                              ;   in Loop: Header=BB2_34 Depth=2
	s_andn2_saveexec_b64 s[22:23], s[22:23]
	s_cbranch_execz .LBB2_191
; %bb.190:                              ;   in Loop: Header=BB2_34 Depth=2
	s_waitcnt vmcnt(1)
	v_mov_b32_e32 v4, v28
	s_waitcnt vmcnt(0)
	v_mov_b32_e32 v22, v0
.LBB2_191:                              ;   in Loop: Header=BB2_34 Depth=2
	s_or_b64 exec, exec, s[22:23]
                                        ; implicit-def: $vgpr3
.LBB2_192:                              ;   in Loop: Header=BB2_34 Depth=2
	s_andn2_saveexec_b64 s[36:37], s[20:21]
	s_cbranch_execz .LBB2_214
; %bb.193:                              ;   in Loop: Header=BB2_34 Depth=2
	v_cmp_lt_i32_e32 vcc, 13, v3
                                        ; implicit-def: $vgpr4
                                        ; implicit-def: $vgpr22
	s_and_saveexec_b64 s[4:5], vcc
	s_xor_b64 s[20:21], exec, s[4:5]
	s_cbranch_execz .LBB2_203
; %bb.194:                              ;   in Loop: Header=BB2_34 Depth=2
	buffer_load_dword v3, off, s[96:99], 0 offset:28 ; 4-byte Folded Reload
                                        ; implicit-def: $vgpr4
	s_waitcnt vmcnt(0)
	v_cmp_lt_i32_e32 vcc, 1, v3
	s_and_saveexec_b64 s[4:5], vcc
	s_xor_b64 s[22:23], exec, s[4:5]
	s_cbranch_execz .LBB2_198
; %bb.195:                              ;   in Loop: Header=BB2_34 Depth=2
	buffer_load_dword v3, off, s[96:99], 0 offset:28 ; 4-byte Folded Reload
	v_mov_b32_e32 v4, v54
	s_waitcnt vmcnt(0)
	v_cmp_gt_i32_e32 vcc, 3, v3
	s_and_saveexec_b64 s[24:25], vcc
; %bb.196:                              ;   in Loop: Header=BB2_34 Depth=2
	v_mul_f32_e32 v4, 0.5, v54
; %bb.197:                              ;   in Loop: Header=BB2_34 Depth=2
	s_or_b64 exec, exec, s[24:25]
.LBB2_198:                              ;   in Loop: Header=BB2_34 Depth=2
	s_or_saveexec_b64 s[22:23], s[22:23]
	v_mov_b32_e32 v22, v41
	s_xor_b64 exec, exec, s[22:23]
	s_cbranch_execz .LBB2_202
; %bb.199:                              ;   in Loop: Header=BB2_34 Depth=2
	buffer_load_dword v3, off, s[96:99], 0 offset:28 ; 4-byte Folded Reload
	s_waitcnt vmcnt(0)
	v_cmp_ne_u32_e32 vcc, 1, v3
	s_and_saveexec_b64 s[4:5], vcc
	s_xor_b64 s[24:25], exec, s[4:5]
	s_or_saveexec_b64 s[24:25], s[24:25]
	v_mul_f32_e32 v4, 0.5, v54
	s_xor_b64 exec, exec, s[24:25]
; %bb.200:                              ;   in Loop: Header=BB2_34 Depth=2
	v_mov_b32_e32 v4, v54
; %bb.201:                              ;   in Loop: Header=BB2_34 Depth=2
	s_or_b64 exec, exec, s[24:25]
	v_add_f32_e32 v22, v41, v41
.LBB2_202:                              ;   in Loop: Header=BB2_34 Depth=2
	s_or_b64 exec, exec, s[22:23]
.LBB2_203:                              ;   in Loop: Header=BB2_34 Depth=2
	s_andn2_saveexec_b64 s[38:39], s[20:21]
	s_cbranch_execz .LBB2_213
; %bb.204:                              ;   in Loop: Header=BB2_34 Depth=2
	s_waitcnt vmcnt(1)
	global_load_dword v3, v[55:56], off
	buffer_load_dword v4, off, s[96:99], 0 offset:204 ; 4-byte Folded Reload
                                        ; implicit-def: $vgpr21
                                        ; implicit-def: $vgpr22
	s_waitcnt vmcnt(1)
	v_cmp_lt_f32_e32 vcc, 0.5, v3
	v_mov_b32_e32 v3, 0x40490fdb
	v_cndmask_b32_e64 v3, v3, 0, vcc
	s_waitcnt vmcnt(0)
	v_add_f32_e32 v3, v4, v3
	v_and_b32_e32 v10, 0x7fffffff, v3
	v_lshrrev_b32_e32 v4, 23, v10
	v_and_b32_e32 v8, 0x7fffff, v10
	v_cmp_nlt_f32_e64 s[42:43], |v3|, s82
	v_add_u32_e32 v30, 0xffffff88, v4
	v_or_b32_e32 v24, 0x800000, v8
	s_and_saveexec_b64 s[4:5], s[42:43]
	s_xor_b64 s[46:47], exec, s[4:5]
	s_cbranch_execz .LBB2_206
; %bb.205:                              ;   in Loop: Header=BB2_34 Depth=2
	v_mad_u64_u32 v[21:22], s[4:5], v24, s83, 0
	v_cmp_lt_u32_e32 vcc, 63, v30
	v_mov_b32_e32 v4, v22
	v_mad_u64_u32 v[31:32], s[4:5], v24, s84, v[4:5]
	v_mov_b32_e32 v4, v32
	v_mad_u64_u32 v[38:39], s[4:5], v24, s85, v[4:5]
	;; [unrolled: 2-line block ×3, first 2 shown]
	v_cndmask_b32_e32 v4, 0, v1, vcc
	v_add_u32_e32 v8, v4, v30
	v_mov_b32_e32 v4, v40
	v_mad_u64_u32 v[45:46], s[4:5], v24, s87, v[4:5]
	v_cmp_lt_u32_e64 s[20:21], 31, v8
	v_cndmask_b32_e64 v4, 0, v13, s[20:21]
	v_add_u32_e32 v8, v4, v8
	v_mov_b32_e32 v4, v46
	v_mad_u64_u32 v[50:51], s[4:5], v24, s88, v[4:5]
	v_cmp_lt_u32_e64 s[22:23], 31, v8
	v_cndmask_b32_e64 v4, 0, v13, s[22:23]
	v_add_u32_e32 v8, v4, v8
	v_mov_b32_e32 v4, v51
	v_mad_u64_u32 v[51:52], s[4:5], v24, s89, v[4:5]
	v_cndmask_b32_e32 v22, v50, v39, vcc
	v_cndmask_b32_e32 v4, v45, v38, vcc
	;; [unrolled: 1-line block ×3, first 2 shown]
	buffer_load_dword v50, off, s[96:99], 0 ; 4-byte Folded Reload
	v_cndmask_b32_e32 v32, v51, v45, vcc
	v_cndmask_b32_e64 v25, v22, v4, s[20:21]
	v_cndmask_b32_e64 v22, v32, v22, s[20:21]
	;; [unrolled: 1-line block ×3, first 2 shown]
	v_cndmask_b32_e32 v31, v39, v31, vcc
	v_cndmask_b32_e64 v32, v32, v22, s[22:23]
	v_cndmask_b32_e64 v22, v22, v25, s[22:23]
	v_sub_u32_e32 v34, 32, v8
	v_cndmask_b32_e64 v4, v4, v31, s[20:21]
	v_alignbit_b32 v40, v32, v22, v34
	v_cmp_eq_u32_e64 s[24:25], 0, v8
	v_cndmask_b32_e64 v25, v25, v4, s[22:23]
	v_cndmask_b32_e64 v8, v40, v32, s[24:25]
	v_alignbit_b32 v32, v22, v25, v34
	v_cndmask_b32_e32 v21, v38, v21, vcc
	v_cndmask_b32_e64 v22, v32, v22, s[24:25]
	v_bfe_u32 v40, v8, 29, 1
	v_cndmask_b32_e64 v21, v31, v21, s[20:21]
	v_alignbit_b32 v32, v8, v22, 30
	v_sub_u32_e32 v42, 0, v40
	v_cndmask_b32_e64 v4, v4, v21, s[22:23]
	v_xor_b32_e32 v32, v32, v42
	v_alignbit_b32 v21, v25, v4, v34
	v_cndmask_b32_e64 v21, v21, v25, s[24:25]
	v_ffbh_u32_e32 v25, v32
	v_alignbit_b32 v22, v22, v21, 30
	v_min_u32_e32 v25, 32, v25
	v_alignbit_b32 v4, v21, v4, 30
	v_xor_b32_e32 v22, v22, v42
	v_sub_u32_e32 v31, 31, v25
	v_xor_b32_e32 v4, v4, v42
	v_alignbit_b32 v32, v32, v22, v31
	v_alignbit_b32 v4, v22, v4, v31
	;; [unrolled: 1-line block ×3, first 2 shown]
	v_ffbh_u32_e32 v22, v21
	v_min_u32_e32 v22, 32, v22
	v_lshrrev_b32_e32 v39, 29, v8
	v_not_b32_e32 v31, v22
	v_alignbit_b32 v4, v21, v4, v31
	v_lshlrev_b32_e32 v21, 31, v39
	v_or_b32_e32 v31, 0x33000000, v21
	v_add_lshl_u32 v22, v22, v25, 23
	v_lshrrev_b32_e32 v4, 9, v4
	v_sub_u32_e32 v22, v31, v22
	v_or_b32_e32 v21, 0.5, v21
	v_lshlrev_b32_e32 v25, 23, v25
	v_or_b32_e32 v4, v22, v4
	v_lshrrev_b32_e32 v22, 9, v32
	v_sub_u32_e32 v21, v21, v25
	v_or_b32_e32 v21, v22, v21
	v_mul_f32_e32 v22, 0x3fc90fda, v21
	v_fma_f32 v25, v21, s90, -v22
	v_fmac_f32_e32 v25, 0x33a22168, v21
	v_fmac_f32_e32 v25, 0x3fc90fda, v4
	v_lshrrev_b32_e32 v4, 30, v8
	v_add_f32_e32 v22, v22, v25
	v_add_u32_e32 v21, v40, v4
.LBB2_206:                              ;   in Loop: Header=BB2_34 Depth=2
	s_or_saveexec_b64 s[20:21], s[46:47]
	v_mul_f32_e64 v4, |v3|, s91
	v_rndne_f32_e32 v32, v4
	s_xor_b64 exec, exec, s[20:21]
; %bb.207:                              ;   in Loop: Header=BB2_34 Depth=2
	v_cvt_i32_f32_e32 v21, v32
	v_fma_f32 v22, v32, s92, |v3|
	v_fmac_f32_e32 v22, 0xb3a22168, v32
	v_fmac_f32_e32 v22, 0xa7c234c4, v32
; %bb.208:                              ;   in Loop: Header=BB2_34 Depth=2
	s_or_b64 exec, exec, s[20:21]
                                        ; implicit-def: $vgpr4
                                        ; implicit-def: $vgpr31
	s_and_saveexec_b64 s[4:5], s[42:43]
	s_xor_b64 s[42:43], exec, s[4:5]
	s_cbranch_execz .LBB2_210
; %bb.209:                              ;   in Loop: Header=BB2_34 Depth=2
	v_mad_u64_u32 v[31:32], s[4:5], v24, s83, 0
	v_cmp_lt_u32_e32 vcc, 63, v30
	v_mov_b32_e32 v4, v32
	v_mad_u64_u32 v[38:39], s[4:5], v24, s84, v[4:5]
	v_mov_b32_e32 v4, v39
	v_mad_u64_u32 v[39:40], s[4:5], v24, s85, v[4:5]
	v_mov_b32_e32 v4, v40
	v_mad_u64_u32 v[45:46], s[4:5], v24, s86, v[4:5]
	v_cndmask_b32_e32 v4, 0, v1, vcc
	v_add_u32_e32 v8, v4, v30
	v_mov_b32_e32 v4, v46
	s_waitcnt vmcnt(0)
	v_mad_u64_u32 v[50:51], s[4:5], v24, s87, v[4:5]
	v_cmp_lt_u32_e64 s[20:21], 31, v8
	v_cndmask_b32_e64 v4, 0, v13, s[20:21]
	v_add_u32_e32 v8, v4, v8
	v_mov_b32_e32 v4, v51
	v_mad_u64_u32 v[51:52], s[4:5], v24, s88, v[4:5]
	v_cmp_lt_u32_e64 s[22:23], 31, v8
	v_cndmask_b32_e64 v4, 0, v13, s[22:23]
	v_add_u32_e32 v8, v4, v8
	v_mov_b32_e32 v4, v52
	v_mad_u64_u32 v[24:25], s[4:5], v24, s89, v[4:5]
	v_cndmask_b32_e32 v4, v50, v39, vcc
	v_cndmask_b32_e32 v30, v51, v45, vcc
	v_cndmask_b32_e32 v24, v24, v50, vcc
	buffer_load_dword v50, off, s[96:99], 0 ; 4-byte Folded Reload
	v_cndmask_b32_e32 v25, v25, v51, vcc
	v_cndmask_b32_e64 v32, v30, v4, s[20:21]
	v_cndmask_b32_e64 v30, v24, v30, s[20:21]
	;; [unrolled: 1-line block ×5, first 2 shown]
	v_sub_u32_e32 v30, 32, v8
	v_alignbit_b32 v34, v24, v25, v30
	v_cmp_eq_u32_e64 s[24:25], 0, v8
	v_cndmask_b32_e64 v8, v34, v24, s[24:25]
	v_cndmask_b32_e32 v24, v45, v38, vcc
	v_cndmask_b32_e64 v4, v4, v24, s[20:21]
	v_cndmask_b32_e64 v32, v32, v4, s[22:23]
	v_alignbit_b32 v34, v25, v32, v30
	v_cndmask_b32_e32 v31, v39, v31, vcc
	v_cndmask_b32_e64 v25, v34, v25, s[24:25]
	v_bfe_u32 v40, v8, 29, 1
	v_cndmask_b32_e64 v24, v24, v31, s[20:21]
	v_alignbit_b32 v34, v8, v25, 30
	v_sub_u32_e32 v42, 0, v40
	v_cndmask_b32_e64 v4, v4, v24, s[22:23]
	v_xor_b32_e32 v34, v34, v42
	v_alignbit_b32 v24, v32, v4, v30
	v_cndmask_b32_e64 v24, v24, v32, s[24:25]
	v_ffbh_u32_e32 v30, v34
	v_alignbit_b32 v25, v25, v24, 30
	v_min_u32_e32 v30, 32, v30
	v_alignbit_b32 v4, v24, v4, 30
	v_xor_b32_e32 v25, v25, v42
	v_sub_u32_e32 v31, 31, v30
	v_xor_b32_e32 v4, v4, v42
	v_alignbit_b32 v32, v34, v25, v31
	v_alignbit_b32 v4, v25, v4, v31
	;; [unrolled: 1-line block ×3, first 2 shown]
	v_ffbh_u32_e32 v25, v24
	v_min_u32_e32 v25, 32, v25
	v_lshrrev_b32_e32 v38, 29, v8
	v_not_b32_e32 v31, v25
	v_alignbit_b32 v4, v24, v4, v31
	v_lshlrev_b32_e32 v24, 31, v38
	v_or_b32_e32 v31, 0x33000000, v24
	v_add_lshl_u32 v25, v25, v30, 23
	v_lshrrev_b32_e32 v4, 9, v4
	v_sub_u32_e32 v25, v31, v25
	v_or_b32_e32 v24, 0.5, v24
	v_lshlrev_b32_e32 v30, 23, v30
	v_or_b32_e32 v4, v25, v4
	v_lshrrev_b32_e32 v25, 9, v32
	v_sub_u32_e32 v24, v24, v30
	v_or_b32_e32 v24, v25, v24
	v_mul_f32_e32 v25, 0x3fc90fda, v24
	v_fma_f32 v30, v24, s90, -v25
	v_fmac_f32_e32 v30, 0x33a22168, v24
	v_fmac_f32_e32 v30, 0x3fc90fda, v4
	v_lshrrev_b32_e32 v4, 30, v8
	v_add_f32_e32 v31, v25, v30
	v_add_u32_e32 v4, v40, v4
                                        ; implicit-def: $vgpr32
	s_andn2_saveexec_b64 s[20:21], s[42:43]
	s_cbranch_execnz .LBB2_211
	s_branch .LBB2_212
.LBB2_210:                              ;   in Loop: Header=BB2_34 Depth=2
	s_andn2_saveexec_b64 s[20:21], s[42:43]
.LBB2_211:                              ;   in Loop: Header=BB2_34 Depth=2
	v_cvt_i32_f32_e32 v4, v32
	v_fma_f32 v31, v32, s92, |v3|
	v_fmac_f32_e32 v31, 0xb3a22168, v32
	v_fmac_f32_e32 v31, 0xa7c234c4, v32
.LBB2_212:                              ;   in Loop: Header=BB2_34 Depth=2
	s_or_b64 exec, exec, s[20:21]
	v_mul_f32_e32 v8, v22, v22
	v_mov_b32_e32 v24, 0x3c0881c4
	v_fmac_f32_e32 v24, 0xb94c1982, v8
	v_fma_f32 v24, v8, v24, v57
	v_mul_f32_e32 v24, v8, v24
	v_fmac_f32_e32 v22, v22, v24
	v_mov_b32_e32 v24, 0xbab64f3b
	v_fmac_f32_e32 v24, 0x37d75334, v8
	v_mov_b32_e32 v23, 0x3d2aabf7
	v_fma_f32 v24, v8, v24, v23
	v_mov_b32_e32 v25, 0xbf000004
	v_fma_f32 v24, v8, v24, v25
	v_fma_f32 v8, v8, v24, 1.0
	v_and_b32_e32 v24, 1, v21
	v_cmp_eq_u32_e32 vcc, 0, v24
	buffer_load_dword v24, off, s[96:99], 0 offset:200 ; 4-byte Folded Reload
	v_lshlrev_b32_e32 v21, 30, v21
	v_cndmask_b32_e64 v8, -v22, v8, vcc
	v_and_b32_e32 v21, 0x80000000, v21
	v_xor_b32_e32 v8, v21, v8
	v_cmp_class_f32_e64 vcc, v3, s93
	v_cndmask_b32_e32 v8, v58, v8, vcc
	v_mov_b32_e32 v21, 0x3c0881c4
	v_xor_b32_e32 v3, v10, v3
	v_mov_b32_e32 v42, 0x3d2aabf7
	s_waitcnt vmcnt(0)
	v_mul_f32_e32 v22, v24, v8
	v_mul_f32_e32 v8, v31, v31
	v_fmac_f32_e32 v21, 0xb94c1982, v8
	v_fma_f32 v21, v8, v21, v57
	v_mul_f32_e32 v21, v8, v21
	v_fmac_f32_e32 v31, v31, v21
	v_mov_b32_e32 v21, 0xbab64f3b
	v_fmac_f32_e32 v21, 0x37d75334, v8
	v_fma_f32 v21, v8, v21, v23
	v_fma_f32 v21, v8, v21, v25
	v_fma_f32 v8, v8, v21, 1.0
	v_and_b32_e32 v21, 1, v4
	v_lshlrev_b32_e32 v4, 30, v4
	v_cmp_eq_u32_e64 s[20:21], 0, v21
	v_and_b32_e32 v4, 0x80000000, v4
	v_cndmask_b32_e64 v8, v8, v31, s[20:21]
	v_xor_b32_e32 v3, v3, v4
	v_xor_b32_e32 v3, v3, v8
	v_cndmask_b32_e32 v3, v58, v3, vcc
	v_mov_b32_e32 v23, 0xbf000004
	v_mul_f32_e32 v4, v24, v3
.LBB2_213:                              ;   in Loop: Header=BB2_34 Depth=2
	s_or_b64 exec, exec, s[38:39]
.LBB2_214:                              ;   in Loop: Header=BB2_34 Depth=2
	s_or_b64 exec, exec, s[36:37]
                                        ; implicit-def: $vgpr3
.LBB2_215:                              ;   in Loop: Header=BB2_34 Depth=2
	s_andn2_saveexec_b64 s[20:21], s[34:35]
	s_cbranch_execz .LBB2_225
; %bb.216:                              ;   in Loop: Header=BB2_34 Depth=2
	v_cmp_lt_i32_e32 vcc, 10, v3
                                        ; implicit-def: $vgpr4
                                        ; implicit-def: $vgpr22
	s_and_saveexec_b64 s[4:5], vcc
	s_xor_b64 s[22:23], exec, s[4:5]
	s_cbranch_execz .LBB2_220
; %bb.217:                              ;   in Loop: Header=BB2_34 Depth=2
	v_cmp_lt_i32_e32 vcc, 11, v3
	s_and_saveexec_b64 s[4:5], vcc
	s_xor_b64 s[24:25], exec, s[4:5]
	s_or_saveexec_b64 s[24:25], s[24:25]
	buffer_load_dword v4, off, s[96:99], 0 offset:44 ; 4-byte Folded Reload
	buffer_load_dword v22, off, s[96:99], 0 offset:40 ; 4-byte Folded Reload
	s_xor_b64 exec, exec, s[24:25]
	s_cbranch_execz .LBB2_219
; %bb.218:                              ;   in Loop: Header=BB2_34 Depth=2
	buffer_load_dword v4, off, s[96:99], 0 offset:56 ; 4-byte Folded Reload
	buffer_load_dword v22, off, s[96:99], 0 offset:52 ; 4-byte Folded Reload
.LBB2_219:                              ;   in Loop: Header=BB2_34 Depth=2
	s_or_b64 exec, exec, s[24:25]
                                        ; implicit-def: $vgpr3
.LBB2_220:                              ;   in Loop: Header=BB2_34 Depth=2
	s_andn2_saveexec_b64 s[22:23], s[22:23]
	s_cbranch_execz .LBB2_224
; %bb.221:                              ;   in Loop: Header=BB2_34 Depth=2
	v_cmp_lt_i32_e32 vcc, 9, v3
	s_and_saveexec_b64 s[4:5], vcc
	s_xor_b64 s[24:25], exec, s[4:5]
	s_or_saveexec_b64 s[24:25], s[24:25]
	s_waitcnt vmcnt(1)
	v_mul_f32_e32 v4, v36, v49
	s_waitcnt vmcnt(0)
	v_mov_b32_e32 v22, v2
	s_xor_b64 exec, exec, s[24:25]
	s_cbranch_execz .LBB2_223
; %bb.222:                              ;   in Loop: Header=BB2_34 Depth=2
	buffer_load_dword v4, off, s[96:99], 0 offset:64 ; 4-byte Folded Reload
	buffer_load_dword v22, off, s[96:99], 0 offset:60 ; 4-byte Folded Reload
.LBB2_223:                              ;   in Loop: Header=BB2_34 Depth=2
	s_or_b64 exec, exec, s[24:25]
.LBB2_224:                              ;   in Loop: Header=BB2_34 Depth=2
	s_or_b64 exec, exec, s[22:23]
.LBB2_225:                              ;   in Loop: Header=BB2_34 Depth=2
	s_or_b64 exec, exec, s[20:21]
                                        ; implicit-def: $vgpr3
                                        ; implicit-def: $vgpr21
                                        ; implicit-def: $vgpr10
.LBB2_226:                              ;   in Loop: Header=BB2_34 Depth=2
	s_andn2_saveexec_b64 s[20:21], s[30:31]
	s_cbranch_execz .LBB2_31
; %bb.227:                              ;   in Loop: Header=BB2_34 Depth=2
	v_cmp_lt_i32_e32 vcc, 3, v3
                                        ; implicit-def: $vgpr4
                                        ; implicit-def: $vgpr22
	s_and_saveexec_b64 s[4:5], vcc
	s_xor_b64 s[22:23], exec, s[4:5]
	s_cbranch_execz .LBB2_241
; %bb.228:                              ;   in Loop: Header=BB2_34 Depth=2
	v_cmp_lt_i32_e32 vcc, 5, v3
                                        ; implicit-def: $vgpr4
                                        ; implicit-def: $vgpr22
	s_and_saveexec_b64 s[4:5], vcc
	s_xor_b64 s[24:25], exec, s[4:5]
	s_cbranch_execz .LBB2_236
; %bb.229:                              ;   in Loop: Header=BB2_34 Depth=2
	v_cmp_lt_i32_e32 vcc, 6, v3
                                        ; implicit-def: $vgpr4
                                        ; implicit-def: $vgpr22
	s_and_saveexec_b64 s[4:5], vcc
	s_xor_b64 s[30:31], exec, s[4:5]
	s_cbranch_execz .LBB2_233
; %bb.230:                              ;   in Loop: Header=BB2_34 Depth=2
	v_cmp_lt_i32_e32 vcc, 7, v3
	s_and_saveexec_b64 s[4:5], vcc
	s_xor_b64 s[34:35], exec, s[4:5]
	s_or_saveexec_b64 s[34:35], s[34:35]
	buffer_load_dword v4, off, s[96:99], 0 offset:76 ; 4-byte Folded Reload
	buffer_load_dword v22, off, s[96:99], 0 offset:68 ; 4-byte Folded Reload
	s_xor_b64 exec, exec, s[34:35]
	s_cbranch_execz .LBB2_232
; %bb.231:                              ;   in Loop: Header=BB2_34 Depth=2
	buffer_load_dword v4, off, s[96:99], 0 offset:120 ; 4-byte Folded Reload
	buffer_load_dword v22, off, s[96:99], 0 offset:116 ; 4-byte Folded Reload
.LBB2_232:                              ;   in Loop: Header=BB2_34 Depth=2
	s_or_b64 exec, exec, s[34:35]
.LBB2_233:                              ;   in Loop: Header=BB2_34 Depth=2
	s_andn2_saveexec_b64 s[30:31], s[30:31]
	s_cbranch_execz .LBB2_235
; %bb.234:                              ;   in Loop: Header=BB2_34 Depth=2
	buffer_load_dword v4, off, s[96:99], 0 offset:96 ; 4-byte Folded Reload
	buffer_load_dword v22, off, s[96:99], 0 offset:80 ; 4-byte Folded Reload
.LBB2_235:                              ;   in Loop: Header=BB2_34 Depth=2
	s_or_b64 exec, exec, s[30:31]
                                        ; implicit-def: $vgpr3
.LBB2_236:                              ;   in Loop: Header=BB2_34 Depth=2
	s_andn2_saveexec_b64 s[24:25], s[24:25]
	s_cbranch_execz .LBB2_240
; %bb.237:                              ;   in Loop: Header=BB2_34 Depth=2
	v_cmp_lt_i32_e32 vcc, 4, v3
	s_and_saveexec_b64 s[4:5], vcc
	s_xor_b64 s[30:31], exec, s[4:5]
	s_or_saveexec_b64 s[30:31], s[30:31]
	s_waitcnt vmcnt(1)
	v_add_f32_e32 v4, -1.0, v36
	s_waitcnt vmcnt(0)
	v_mov_b32_e32 v22, v48
	s_xor_b64 exec, exec, s[30:31]
	s_cbranch_execz .LBB2_239
; %bb.238:                              ;   in Loop: Header=BB2_34 Depth=2
	buffer_load_dword v4, off, s[96:99], 0 offset:212 ; 4-byte Folded Reload
	buffer_load_dword v22, off, s[96:99], 0 offset:208 ; 4-byte Folded Reload
.LBB2_239:                              ;   in Loop: Header=BB2_34 Depth=2
	s_or_b64 exec, exec, s[30:31]
.LBB2_240:                              ;   in Loop: Header=BB2_34 Depth=2
	s_or_b64 exec, exec, s[24:25]
                                        ; implicit-def: $vgpr3
                                        ; implicit-def: $vgpr21
                                        ; implicit-def: $vgpr10
.LBB2_241:                              ;   in Loop: Header=BB2_34 Depth=2
	s_andn2_saveexec_b64 s[22:23], s[22:23]
	s_cbranch_execz .LBB2_30
; %bb.242:                              ;   in Loop: Header=BB2_34 Depth=2
	v_cmp_lt_i32_e32 vcc, 1, v3
                                        ; implicit-def: $vgpr4
                                        ; implicit-def: $vgpr22
	s_and_saveexec_b64 s[4:5], vcc
	s_xor_b64 s[24:25], exec, s[4:5]
	s_cbranch_execz .LBB2_246
; %bb.243:                              ;   in Loop: Header=BB2_34 Depth=2
	v_cmp_lt_i32_e32 vcc, 2, v3
	s_and_saveexec_b64 s[4:5], vcc
	s_xor_b64 s[30:31], exec, s[4:5]
	s_or_saveexec_b64 s[30:31], s[30:31]
	s_waitcnt vmcnt(1)
	v_mov_b32_e32 v4, v35
	s_waitcnt vmcnt(0)
	v_mov_b32_e32 v22, v44
	s_xor_b64 exec, exec, s[30:31]
	s_cbranch_execz .LBB2_245
; %bb.244:                              ;   in Loop: Header=BB2_34 Depth=2
	buffer_load_dword v4, off, s[96:99], 0 offset:220 ; 4-byte Folded Reload
	buffer_load_dword v22, off, s[96:99], 0 offset:216 ; 4-byte Folded Reload
.LBB2_245:                              ;   in Loop: Header=BB2_34 Depth=2
	s_or_b64 exec, exec, s[30:31]
                                        ; implicit-def: $vgpr21
                                        ; implicit-def: $vgpr10
                                        ; implicit-def: $vgpr3
.LBB2_246:                              ;   in Loop: Header=BB2_34 Depth=2
	s_andn2_saveexec_b64 s[24:25], s[24:25]
	s_cbranch_execz .LBB2_29
; %bb.247:                              ;   in Loop: Header=BB2_34 Depth=2
	v_cmp_lt_i32_e32 vcc, 0, v3
	s_and_saveexec_b64 s[4:5], vcc
	s_xor_b64 s[30:31], exec, s[4:5]
; %bb.248:                              ;   in Loop: Header=BB2_34 Depth=2
                                        ; implicit-def: $vgpr21
                                        ; implicit-def: $vgpr10
                                        ; implicit-def: $vgpr3
; %bb.249:                              ;   in Loop: Header=BB2_34 Depth=2
	s_or_saveexec_b64 s[30:31], s[30:31]
	buffer_load_dword v4, off, s[96:99], 0 offset:8 ; 4-byte Folded Reload
	buffer_load_dword v22, off, s[96:99], 0 offset:20 ; 4-byte Folded Reload
	s_xor_b64 exec, exec, s[30:31]
	s_cbranch_execz .LBB2_28
; %bb.250:                              ;   in Loop: Header=BB2_34 Depth=2
	v_cmp_eq_u32_e32 vcc, 0, v3
	s_and_saveexec_b64 s[34:35], vcc
	s_cbranch_execz .LBB2_27
; %bb.251:                              ;   in Loop: Header=BB2_34 Depth=2
	s_waitcnt vmcnt(3)
	v_mov_b32_e32 v21, v54
	s_waitcnt vmcnt(2)
	v_mov_b32_e32 v10, v41
	s_branch .LBB2_27
.LBB2_252:
	s_endpgm
	.section	.rodata,"a",@progbits
	.p2align	6, 0x0
	.amdhsa_kernel _Z22kernel_generate_pointsP15HIP_vector_typeIfLj3EEPS_IsLj2EEPsPKtiPKf14ConstMemParams
		.amdhsa_group_segment_fixed_size 0
		.amdhsa_private_segment_fixed_size 364
		.amdhsa_kernarg_size 2232
		.amdhsa_user_sgpr_count 6
		.amdhsa_user_sgpr_private_segment_buffer 1
		.amdhsa_user_sgpr_dispatch_ptr 0
		.amdhsa_user_sgpr_queue_ptr 0
		.amdhsa_user_sgpr_kernarg_segment_ptr 1
		.amdhsa_user_sgpr_dispatch_id 0
		.amdhsa_user_sgpr_flat_scratch_init 0
		.amdhsa_user_sgpr_private_segment_size 0
		.amdhsa_uses_dynamic_stack 0
		.amdhsa_system_sgpr_private_segment_wavefront_offset 1
		.amdhsa_system_sgpr_workgroup_id_x 1
		.amdhsa_system_sgpr_workgroup_id_y 0
		.amdhsa_system_sgpr_workgroup_id_z 0
		.amdhsa_system_sgpr_workgroup_info 0
		.amdhsa_system_vgpr_workitem_id 0
		.amdhsa_next_free_vgpr 64
		.amdhsa_next_free_sgpr 100
		.amdhsa_reserve_vcc 1
		.amdhsa_reserve_flat_scratch 0
		.amdhsa_float_round_mode_32 0
		.amdhsa_float_round_mode_16_64 0
		.amdhsa_float_denorm_mode_32 3
		.amdhsa_float_denorm_mode_16_64 3
		.amdhsa_dx10_clamp 1
		.amdhsa_ieee_mode 1
		.amdhsa_fp16_overflow 0
		.amdhsa_exception_fp_ieee_invalid_op 0
		.amdhsa_exception_fp_denorm_src 0
		.amdhsa_exception_fp_ieee_div_zero 0
		.amdhsa_exception_fp_ieee_overflow 0
		.amdhsa_exception_fp_ieee_underflow 0
		.amdhsa_exception_fp_ieee_inexact 0
		.amdhsa_exception_int_div_zero 0
	.end_amdhsa_kernel
	.text
.Lfunc_end2:
	.size	_Z22kernel_generate_pointsP15HIP_vector_typeIfLj3EEPS_IsLj2EEPsPKtiPKf14ConstMemParams, .Lfunc_end2-_Z22kernel_generate_pointsP15HIP_vector_typeIfLj3EEPS_IsLj2EEPsPKtiPKf14ConstMemParams
                                        ; -- End function
	.set _Z22kernel_generate_pointsP15HIP_vector_typeIfLj3EEPS_IsLj2EEPsPKtiPKf14ConstMemParams.num_vgpr, 64
	.set _Z22kernel_generate_pointsP15HIP_vector_typeIfLj3EEPS_IsLj2EEPsPKtiPKf14ConstMemParams.num_agpr, 0
	.set _Z22kernel_generate_pointsP15HIP_vector_typeIfLj3EEPS_IsLj2EEPsPKtiPKf14ConstMemParams.numbered_sgpr, 100
	.set _Z22kernel_generate_pointsP15HIP_vector_typeIfLj3EEPS_IsLj2EEPsPKtiPKf14ConstMemParams.num_named_barrier, 0
	.set _Z22kernel_generate_pointsP15HIP_vector_typeIfLj3EEPS_IsLj2EEPsPKtiPKf14ConstMemParams.private_seg_size, 364
	.set _Z22kernel_generate_pointsP15HIP_vector_typeIfLj3EEPS_IsLj2EEPsPKtiPKf14ConstMemParams.uses_vcc, 1
	.set _Z22kernel_generate_pointsP15HIP_vector_typeIfLj3EEPS_IsLj2EEPsPKtiPKf14ConstMemParams.uses_flat_scratch, 0
	.set _Z22kernel_generate_pointsP15HIP_vector_typeIfLj3EEPS_IsLj2EEPsPKtiPKf14ConstMemParams.has_dyn_sized_stack, 0
	.set _Z22kernel_generate_pointsP15HIP_vector_typeIfLj3EEPS_IsLj2EEPsPKtiPKf14ConstMemParams.has_recursion, 0
	.set _Z22kernel_generate_pointsP15HIP_vector_typeIfLj3EEPS_IsLj2EEPsPKtiPKf14ConstMemParams.has_indirect_call, 0
	.section	.AMDGPU.csdata,"",@progbits
; Kernel info:
; codeLenInByte = 37280
; TotalNumSgprs: 104
; NumVgprs: 64
; ScratchSize: 364
; MemoryBound: 0
; FloatMode: 240
; IeeeMode: 1
; LDSByteSize: 0 bytes/workgroup (compile time only)
; SGPRBlocks: 12
; VGPRBlocks: 15
; NumSGPRsForWavesPerEU: 104
; NumVGPRsForWavesPerEU: 64
; Occupancy: 4
; WaveLimiterHint : 0
; COMPUTE_PGM_RSRC2:SCRATCH_EN: 1
; COMPUTE_PGM_RSRC2:USER_SGPR: 6
; COMPUTE_PGM_RSRC2:TRAP_HANDLER: 0
; COMPUTE_PGM_RSRC2:TGID_X_EN: 1
; COMPUTE_PGM_RSRC2:TGID_Y_EN: 0
; COMPUTE_PGM_RSRC2:TGID_Z_EN: 0
; COMPUTE_PGM_RSRC2:TIDIG_COMP_CNT: 0
	.section	.AMDGPU.gpr_maximums,"",@progbits
	.set amdgpu.max_num_vgpr, 0
	.set amdgpu.max_num_agpr, 0
	.set amdgpu.max_num_sgpr, 0
	.section	.AMDGPU.csdata,"",@progbits
	.type	__hip_cuid_55024e6e111443b2,@object ; @__hip_cuid_55024e6e111443b2
	.section	.bss,"aw",@nobits
	.globl	__hip_cuid_55024e6e111443b2
__hip_cuid_55024e6e111443b2:
	.byte	0                               ; 0x0
	.size	__hip_cuid_55024e6e111443b2, 1

	.ident	"AMD clang version 22.0.0git (https://github.com/RadeonOpenCompute/llvm-project roc-7.2.4 26084 f58b06dce1f9c15707c5f808fd002e18c2accf7e)"
	.section	".note.GNU-stack","",@progbits
	.addrsig
	.addrsig_sym __hip_cuid_55024e6e111443b2
	.amdgpu_metadata
---
amdhsa.kernels:
  - .args:
      - .address_space:  global
        .offset:         0
        .size:           8
        .value_kind:     global_buffer
      - .address_space:  global
        .offset:         8
        .size:           8
        .value_kind:     global_buffer
      - .address_space:  global
        .offset:         16
        .size:           8
        .value_kind:     global_buffer
      - .offset:         24
        .size:           4
        .value_kind:     by_value
      - .address_space:  global
        .offset:         32
        .size:           8
        .value_kind:     global_buffer
      - .address_space:  global
        .offset:         40
        .size:           8
        .value_kind:     global_buffer
      - .offset:         48
        .size:           1928
        .value_kind:     by_value
      - .offset:         1976
        .size:           4
        .value_kind:     hidden_block_count_x
      - .offset:         1980
        .size:           4
        .value_kind:     hidden_block_count_y
      - .offset:         1984
        .size:           4
        .value_kind:     hidden_block_count_z
      - .offset:         1988
        .size:           2
        .value_kind:     hidden_group_size_x
      - .offset:         1990
        .size:           2
        .value_kind:     hidden_group_size_y
      - .offset:         1992
        .size:           2
        .value_kind:     hidden_group_size_z
      - .offset:         1994
        .size:           2
        .value_kind:     hidden_remainder_x
      - .offset:         1996
        .size:           2
        .value_kind:     hidden_remainder_y
      - .offset:         1998
        .size:           2
        .value_kind:     hidden_remainder_z
      - .offset:         2016
        .size:           8
        .value_kind:     hidden_global_offset_x
      - .offset:         2024
        .size:           8
        .value_kind:     hidden_global_offset_y
      - .offset:         2032
        .size:           8
        .value_kind:     hidden_global_offset_z
      - .offset:         2040
        .size:           2
        .value_kind:     hidden_grid_dims
    .group_segment_fixed_size: 0
    .kernarg_segment_align: 8
    .kernarg_segment_size: 2232
    .language:       OpenCL C
    .language_version:
      - 2
      - 0
    .max_flat_workgroup_size: 1024
    .name:           _Z17kernel_initializeP15HIP_vector_typeIsLj2EEPsPKtiPS_IfLj2EEPKf14ConstMemParams
    .private_segment_fixed_size: 276
    .sgpr_count:     96
    .sgpr_spill_count: 0
    .symbol:         _Z17kernel_initializeP15HIP_vector_typeIsLj2EEPsPKtiPS_IfLj2EEPKf14ConstMemParams.kd
    .uniform_work_group_size: 1
    .uses_dynamic_stack: false
    .vgpr_count:     64
    .vgpr_spill_count: 103
    .wavefront_size: 64
  - .args:
      - .address_space:  global
        .offset:         0
        .size:           8
        .value_kind:     global_buffer
      - .address_space:  global
        .offset:         8
        .size:           8
        .value_kind:     global_buffer
      - .address_space:  global
        .offset:         16
        .size:           8
        .value_kind:     global_buffer
      - .offset:         24
        .size:           4
        .value_kind:     by_value
      - .address_space:  global
        .offset:         32
        .size:           8
        .value_kind:     global_buffer
      - .offset:         40
        .size:           1928
        .value_kind:     by_value
      - .offset:         1968
        .size:           4
        .value_kind:     hidden_block_count_x
      - .offset:         1972
        .size:           4
        .value_kind:     hidden_block_count_y
      - .offset:         1976
        .size:           4
        .value_kind:     hidden_block_count_z
      - .offset:         1980
        .size:           2
        .value_kind:     hidden_group_size_x
      - .offset:         1982
        .size:           2
        .value_kind:     hidden_group_size_y
      - .offset:         1984
        .size:           2
        .value_kind:     hidden_group_size_z
      - .offset:         1986
        .size:           2
        .value_kind:     hidden_remainder_x
      - .offset:         1988
        .size:           2
        .value_kind:     hidden_remainder_y
      - .offset:         1990
        .size:           2
        .value_kind:     hidden_remainder_z
      - .offset:         2008
        .size:           8
        .value_kind:     hidden_global_offset_x
      - .offset:         2016
        .size:           8
        .value_kind:     hidden_global_offset_y
      - .offset:         2024
        .size:           8
        .value_kind:     hidden_global_offset_z
      - .offset:         2032
        .size:           2
        .value_kind:     hidden_grid_dims
    .group_segment_fixed_size: 0
    .kernarg_segment_align: 8
    .kernarg_segment_size: 2224
    .language:       OpenCL C
    .language_version:
      - 2
      - 0
    .max_flat_workgroup_size: 1024
    .name:           _Z14kernel_iterateP15HIP_vector_typeIsLj2EEPsPKtiPKf14ConstMemParams
    .private_segment_fixed_size: 288
    .sgpr_count:     92
    .sgpr_spill_count: 0
    .symbol:         _Z14kernel_iterateP15HIP_vector_typeIsLj2EEPsPKtiPKf14ConstMemParams.kd
    .uniform_work_group_size: 1
    .uses_dynamic_stack: false
    .vgpr_count:     64
    .vgpr_spill_count: 104
    .wavefront_size: 64
  - .args:
      - .address_space:  global
        .offset:         0
        .size:           8
        .value_kind:     global_buffer
      - .address_space:  global
        .offset:         8
        .size:           8
        .value_kind:     global_buffer
      - .address_space:  global
        .offset:         16
        .size:           8
        .value_kind:     global_buffer
      - .address_space:  global
        .offset:         24
        .size:           8
        .value_kind:     global_buffer
      - .offset:         32
        .size:           4
        .value_kind:     by_value
      - .address_space:  global
        .offset:         40
        .size:           8
        .value_kind:     global_buffer
      - .offset:         48
        .size:           1928
        .value_kind:     by_value
      - .offset:         1976
        .size:           4
        .value_kind:     hidden_block_count_x
      - .offset:         1980
        .size:           4
        .value_kind:     hidden_block_count_y
      - .offset:         1984
        .size:           4
        .value_kind:     hidden_block_count_z
      - .offset:         1988
        .size:           2
        .value_kind:     hidden_group_size_x
      - .offset:         1990
        .size:           2
        .value_kind:     hidden_group_size_y
      - .offset:         1992
        .size:           2
        .value_kind:     hidden_group_size_z
      - .offset:         1994
        .size:           2
        .value_kind:     hidden_remainder_x
      - .offset:         1996
        .size:           2
        .value_kind:     hidden_remainder_y
      - .offset:         1998
        .size:           2
        .value_kind:     hidden_remainder_z
      - .offset:         2016
        .size:           8
        .value_kind:     hidden_global_offset_x
      - .offset:         2024
        .size:           8
        .value_kind:     hidden_global_offset_y
      - .offset:         2032
        .size:           8
        .value_kind:     hidden_global_offset_z
      - .offset:         2040
        .size:           2
        .value_kind:     hidden_grid_dims
    .group_segment_fixed_size: 0
    .kernarg_segment_align: 8
    .kernarg_segment_size: 2232
    .language:       OpenCL C
    .language_version:
      - 2
      - 0
    .max_flat_workgroup_size: 1024
    .name:           _Z22kernel_generate_pointsP15HIP_vector_typeIfLj3EEPS_IsLj2EEPsPKtiPKf14ConstMemParams
    .private_segment_fixed_size: 364
    .sgpr_count:     104
    .sgpr_spill_count: 5
    .symbol:         _Z22kernel_generate_pointsP15HIP_vector_typeIfLj3EEPS_IsLj2EEPsPKtiPKf14ConstMemParams.kd
    .uniform_work_group_size: 1
    .uses_dynamic_stack: false
    .vgpr_count:     64
    .vgpr_spill_count: 119
    .wavefront_size: 64
amdhsa.target:   amdgcn-amd-amdhsa--gfx906
amdhsa.version:
  - 1
  - 2
...

	.end_amdgpu_metadata
